;; amdgpu-corpus repo=ROCm/MIOpen kind=compiled arch=gfx906 opt=O3
	.amdgcn_target "amdgcn-amd-amdhsa--gfx906"
	.amdhsa_code_object_version 6
	.text
	.protected	batched_transpose_16x16_dword ; -- Begin function batched_transpose_16x16_dword
	.globl	batched_transpose_16x16_dword
	.p2align	8
	.type	batched_transpose_16x16_dword,@function
batched_transpose_16x16_dword:          ; @batched_transpose_16x16_dword
; %bb.0:
	s_load_dwordx8 s[8:15], s[4:5], 0x10
	s_waitcnt lgkmcnt(0)
	s_cmp_ge_u32 s6, s11
	s_cbranch_scc1 .LBB0_7
; %bb.1:
	s_load_dwordx4 s[16:19], s[4:5], 0x0
	s_add_i32 s0, s8, 15
	v_and_b32_e32 v4, 15, v0
	s_lshr_b32 s2, s0, 4
	s_add_i32 s0, s9, 15
	v_lshrrev_b32_e32 v5, 4, v0
	v_lshlrev_b32_e32 v0, 2, v4
	s_movk_i32 s1, 0x44
	v_mad_u32_u24 v6, v5, s1, v0
	v_lshlrev_b32_e32 v0, 2, v5
	s_and_b32 s0, s0, -16
	s_mov_b32 s3, s9
	v_mad_u32_u24 v7, v4, s1, v0
	s_sub_i32 s4, 0, s0
	s_lshl_b32 s5, s6, 4
	s_lshl_b32 s7, s10, 4
	v_mov_b32_e32 v1, 0
	s_branch .LBB0_3
.LBB0_2:                                ;   in Loop: Header=BB0_3 Depth=1
	s_or_b64 exec, exec, s[0:1]
	s_add_i32 s6, s6, s10
	s_add_i32 s5, s5, s7
	s_cmp_lt_u32 s6, s11
	s_cbranch_scc0 .LBB0_7
.LBB0_3:                                ; =>This Inner Loop Header: Depth=1
	s_mul_hi_u32 s0, s14, s6
	s_add_i32 s0, s6, s0
	s_lshr_b32 s0, s0, s15
	s_mul_hi_u32 s1, s0, s12
	s_add_i32 s1, s0, s1
	s_lshr_b32 s20, s1, s13
	s_mul_i32 s1, s20, s2
	s_sub_i32 s1, s0, s1
	s_mul_i32 s21, s4, s0
	s_add_i32 s21, s21, s5
	s_lshl_b32 s22, s1, 4
	v_add_u32_e32 v2, s21, v4
	v_or_b32_e32 v0, s22, v5
	v_cmp_gt_u32_e32 vcc, s8, v0
	v_cmp_gt_u32_e64 s[0:1], s9, v2
	s_and_b64 s[24:25], vcc, s[0:1]
	s_waitcnt vmcnt(0) lgkmcnt(0)
	s_barrier
	s_and_saveexec_b64 s[0:1], s[24:25]
	s_cbranch_execz .LBB0_5
; %bb.4:                                ;   in Loop: Header=BB0_3 Depth=1
	v_mov_b32_e32 v3, s8
	v_mad_u64_u32 v[8:9], s[24:25], s20, v3, v[0:1]
	v_mov_b32_e32 v3, v1
	v_lshlrev_b64 v[2:3], 2, v[2:3]
	v_mad_u64_u32 v[10:11], s[24:25], v8, s3, 0
	v_mov_b32_e32 v0, v11
	v_mad_u64_u32 v[8:9], s[24:25], v9, s3, v[0:1]
	v_mov_b32_e32 v0, s19
	v_mov_b32_e32 v11, v8
	v_lshlrev_b64 v[8:9], 2, v[10:11]
	v_add_co_u32_e32 v8, vcc, s18, v8
	v_addc_co_u32_e32 v0, vcc, v0, v9, vcc
	v_add_co_u32_e32 v2, vcc, v8, v2
	v_addc_co_u32_e32 v3, vcc, v0, v3, vcc
	global_load_dword v0, v[2:3], off
	s_waitcnt vmcnt(0)
	ds_write_b32 v6, v0
.LBB0_5:                                ;   in Loop: Header=BB0_3 Depth=1
	s_or_b64 exec, exec, s[0:1]
	v_or_b32_e32 v2, s22, v4
	v_add_u32_e32 v0, s21, v5
	v_cmp_gt_u32_e32 vcc, s8, v2
	v_cmp_gt_u32_e64 s[0:1], s9, v0
	s_and_b64 s[22:23], s[0:1], vcc
	s_waitcnt lgkmcnt(0)
	s_barrier
	s_and_saveexec_b64 s[0:1], s[22:23]
	s_cbranch_execz .LBB0_2
; %bb.6:                                ;   in Loop: Header=BB0_3 Depth=1
	v_mov_b32_e32 v3, s3
	v_mad_u64_u32 v[8:9], s[20:21], s20, v3, v[0:1]
	v_mov_b32_e32 v3, v1
	v_mov_b32_e32 v12, s17
	v_mad_u64_u32 v[10:11], s[20:21], v8, s8, 0
	v_lshlrev_b64 v[2:3], 2, v[2:3]
	v_mov_b32_e32 v0, v11
	v_mad_u64_u32 v[8:9], s[20:21], v9, s8, v[0:1]
	ds_read_b32 v0, v7
	v_mov_b32_e32 v11, v8
	v_lshlrev_b64 v[8:9], 2, v[10:11]
	v_add_co_u32_e32 v8, vcc, s16, v8
	v_addc_co_u32_e32 v9, vcc, v12, v9, vcc
	v_add_co_u32_e32 v2, vcc, v8, v2
	v_addc_co_u32_e32 v3, vcc, v9, v3, vcc
	s_waitcnt lgkmcnt(0)
	global_store_dword v[2:3], v0, off
	s_branch .LBB0_2
.LBB0_7:
	s_endpgm
	.section	.rodata,"a",@progbits
	.p2align	6, 0x0
	.amdhsa_kernel batched_transpose_16x16_dword
		.amdhsa_group_segment_fixed_size 1088
		.amdhsa_private_segment_fixed_size 0
		.amdhsa_kernarg_size 48
		.amdhsa_user_sgpr_count 6
		.amdhsa_user_sgpr_private_segment_buffer 1
		.amdhsa_user_sgpr_dispatch_ptr 0
		.amdhsa_user_sgpr_queue_ptr 0
		.amdhsa_user_sgpr_kernarg_segment_ptr 1
		.amdhsa_user_sgpr_dispatch_id 0
		.amdhsa_user_sgpr_flat_scratch_init 0
		.amdhsa_user_sgpr_private_segment_size 0
		.amdhsa_uses_dynamic_stack 0
		.amdhsa_system_sgpr_private_segment_wavefront_offset 0
		.amdhsa_system_sgpr_workgroup_id_x 1
		.amdhsa_system_sgpr_workgroup_id_y 0
		.amdhsa_system_sgpr_workgroup_id_z 0
		.amdhsa_system_sgpr_workgroup_info 0
		.amdhsa_system_vgpr_workitem_id 0
		.amdhsa_next_free_vgpr 13
		.amdhsa_next_free_sgpr 26
		.amdhsa_reserve_vcc 1
		.amdhsa_reserve_flat_scratch 0
		.amdhsa_float_round_mode_32 0
		.amdhsa_float_round_mode_16_64 0
		.amdhsa_float_denorm_mode_32 3
		.amdhsa_float_denorm_mode_16_64 3
		.amdhsa_dx10_clamp 1
		.amdhsa_ieee_mode 1
		.amdhsa_fp16_overflow 0
		.amdhsa_exception_fp_ieee_invalid_op 0
		.amdhsa_exception_fp_denorm_src 0
		.amdhsa_exception_fp_ieee_div_zero 0
		.amdhsa_exception_fp_ieee_overflow 0
		.amdhsa_exception_fp_ieee_underflow 0
		.amdhsa_exception_fp_ieee_inexact 0
		.amdhsa_exception_int_div_zero 0
	.end_amdhsa_kernel
	.text
.Lfunc_end0:
	.size	batched_transpose_16x16_dword, .Lfunc_end0-batched_transpose_16x16_dword
                                        ; -- End function
	.set batched_transpose_16x16_dword.num_vgpr, 13
	.set batched_transpose_16x16_dword.num_agpr, 0
	.set batched_transpose_16x16_dword.numbered_sgpr, 26
	.set batched_transpose_16x16_dword.num_named_barrier, 0
	.set batched_transpose_16x16_dword.private_seg_size, 0
	.set batched_transpose_16x16_dword.uses_vcc, 1
	.set batched_transpose_16x16_dword.uses_flat_scratch, 0
	.set batched_transpose_16x16_dword.has_dyn_sized_stack, 0
	.set batched_transpose_16x16_dword.has_recursion, 0
	.set batched_transpose_16x16_dword.has_indirect_call, 0
	.section	.AMDGPU.csdata,"",@progbits
; Kernel info:
; codeLenInByte = 452
; TotalNumSgprs: 30
; NumVgprs: 13
; ScratchSize: 0
; MemoryBound: 0
; FloatMode: 240
; IeeeMode: 1
; LDSByteSize: 1088 bytes/workgroup (compile time only)
; SGPRBlocks: 3
; VGPRBlocks: 3
; NumSGPRsForWavesPerEU: 30
; NumVGPRsForWavesPerEU: 13
; Occupancy: 10
; WaveLimiterHint : 0
; COMPUTE_PGM_RSRC2:SCRATCH_EN: 0
; COMPUTE_PGM_RSRC2:USER_SGPR: 6
; COMPUTE_PGM_RSRC2:TRAP_HANDLER: 0
; COMPUTE_PGM_RSRC2:TGID_X_EN: 1
; COMPUTE_PGM_RSRC2:TGID_Y_EN: 0
; COMPUTE_PGM_RSRC2:TGID_Z_EN: 0
; COMPUTE_PGM_RSRC2:TIDIG_COMP_CNT: 0
	.text
	.protected	batched_transpose_16x16_half ; -- Begin function batched_transpose_16x16_half
	.globl	batched_transpose_16x16_half
	.p2align	8
	.type	batched_transpose_16x16_half,@function
batched_transpose_16x16_half:           ; @batched_transpose_16x16_half
; %bb.0:
	s_load_dwordx8 s[8:15], s[4:5], 0x10
	s_waitcnt lgkmcnt(0)
	s_cmp_ge_u32 s6, s11
	s_cbranch_scc1 .LBB1_7
; %bb.1:
	s_load_dwordx4 s[16:19], s[4:5], 0x0
	s_add_i32 s0, s8, 15
	v_and_b32_e32 v4, 15, v0
	s_lshr_b32 s2, s0, 4
	s_add_i32 s0, s9, 15
	v_lshrrev_b32_e32 v5, 4, v0
	v_lshlrev_b32_e32 v0, 1, v4
	v_mad_u32_u24 v6, v5, 36, v0
	v_lshlrev_b32_e32 v0, 1, v5
	s_and_b32 s0, s0, -16
	s_mov_b32 s3, s9
	v_mad_u32_u24 v7, v4, 36, v0
	s_sub_i32 s4, 0, s0
	s_lshl_b32 s5, s6, 4
	s_lshl_b32 s7, s10, 4
	v_mov_b32_e32 v1, 0
	s_branch .LBB1_3
.LBB1_2:                                ;   in Loop: Header=BB1_3 Depth=1
	s_or_b64 exec, exec, s[0:1]
	s_add_i32 s6, s6, s10
	s_add_i32 s5, s5, s7
	s_cmp_lt_u32 s6, s11
	s_cbranch_scc0 .LBB1_7
.LBB1_3:                                ; =>This Inner Loop Header: Depth=1
	s_mul_hi_u32 s0, s14, s6
	s_add_i32 s0, s6, s0
	s_lshr_b32 s0, s0, s15
	s_mul_hi_u32 s1, s0, s12
	s_add_i32 s1, s0, s1
	s_lshr_b32 s20, s1, s13
	s_mul_i32 s1, s20, s2
	s_sub_i32 s1, s0, s1
	s_mul_i32 s21, s4, s0
	s_add_i32 s21, s21, s5
	s_lshl_b32 s22, s1, 4
	v_add_u32_e32 v2, s21, v4
	v_or_b32_e32 v0, s22, v5
	v_cmp_gt_u32_e32 vcc, s8, v0
	v_cmp_gt_u32_e64 s[0:1], s9, v2
	s_and_b64 s[24:25], vcc, s[0:1]
	s_waitcnt vmcnt(0) lgkmcnt(0)
	s_barrier
	s_and_saveexec_b64 s[0:1], s[24:25]
	s_cbranch_execz .LBB1_5
; %bb.4:                                ;   in Loop: Header=BB1_3 Depth=1
	v_mov_b32_e32 v3, s8
	v_mad_u64_u32 v[8:9], s[24:25], s20, v3, v[0:1]
	v_mov_b32_e32 v3, v1
	v_lshlrev_b64 v[2:3], 1, v[2:3]
	v_mad_u64_u32 v[10:11], s[24:25], v8, s3, 0
	v_mov_b32_e32 v0, v11
	v_mad_u64_u32 v[8:9], s[24:25], v9, s3, v[0:1]
	v_mov_b32_e32 v0, s19
	v_mov_b32_e32 v11, v8
	v_lshlrev_b64 v[8:9], 1, v[10:11]
	v_add_co_u32_e32 v8, vcc, s18, v8
	v_addc_co_u32_e32 v0, vcc, v0, v9, vcc
	v_add_co_u32_e32 v2, vcc, v8, v2
	v_addc_co_u32_e32 v3, vcc, v0, v3, vcc
	global_load_ushort v0, v[2:3], off
	s_waitcnt vmcnt(0)
	ds_write_b16 v6, v0
.LBB1_5:                                ;   in Loop: Header=BB1_3 Depth=1
	s_or_b64 exec, exec, s[0:1]
	v_or_b32_e32 v2, s22, v4
	v_add_u32_e32 v0, s21, v5
	v_cmp_gt_u32_e32 vcc, s8, v2
	v_cmp_gt_u32_e64 s[0:1], s9, v0
	s_and_b64 s[22:23], s[0:1], vcc
	s_waitcnt lgkmcnt(0)
	s_barrier
	s_and_saveexec_b64 s[0:1], s[22:23]
	s_cbranch_execz .LBB1_2
; %bb.6:                                ;   in Loop: Header=BB1_3 Depth=1
	v_mov_b32_e32 v3, s3
	v_mad_u64_u32 v[8:9], s[20:21], s20, v3, v[0:1]
	v_mov_b32_e32 v3, v1
	v_mov_b32_e32 v12, s17
	v_mad_u64_u32 v[10:11], s[20:21], v8, s8, 0
	v_lshlrev_b64 v[2:3], 1, v[2:3]
	v_mov_b32_e32 v0, v11
	v_mad_u64_u32 v[8:9], s[20:21], v9, s8, v[0:1]
	ds_read_u16 v0, v7
	v_mov_b32_e32 v11, v8
	v_lshlrev_b64 v[8:9], 1, v[10:11]
	v_add_co_u32_e32 v8, vcc, s16, v8
	v_addc_co_u32_e32 v9, vcc, v12, v9, vcc
	v_add_co_u32_e32 v2, vcc, v8, v2
	v_addc_co_u32_e32 v3, vcc, v9, v3, vcc
	s_waitcnt lgkmcnt(0)
	global_store_short v[2:3], v0, off
	s_branch .LBB1_2
.LBB1_7:
	s_endpgm
	.section	.rodata,"a",@progbits
	.p2align	6, 0x0
	.amdhsa_kernel batched_transpose_16x16_half
		.amdhsa_group_segment_fixed_size 576
		.amdhsa_private_segment_fixed_size 0
		.amdhsa_kernarg_size 48
		.amdhsa_user_sgpr_count 6
		.amdhsa_user_sgpr_private_segment_buffer 1
		.amdhsa_user_sgpr_dispatch_ptr 0
		.amdhsa_user_sgpr_queue_ptr 0
		.amdhsa_user_sgpr_kernarg_segment_ptr 1
		.amdhsa_user_sgpr_dispatch_id 0
		.amdhsa_user_sgpr_flat_scratch_init 0
		.amdhsa_user_sgpr_private_segment_size 0
		.amdhsa_uses_dynamic_stack 0
		.amdhsa_system_sgpr_private_segment_wavefront_offset 0
		.amdhsa_system_sgpr_workgroup_id_x 1
		.amdhsa_system_sgpr_workgroup_id_y 0
		.amdhsa_system_sgpr_workgroup_id_z 0
		.amdhsa_system_sgpr_workgroup_info 0
		.amdhsa_system_vgpr_workitem_id 0
		.amdhsa_next_free_vgpr 13
		.amdhsa_next_free_sgpr 26
		.amdhsa_reserve_vcc 1
		.amdhsa_reserve_flat_scratch 0
		.amdhsa_float_round_mode_32 0
		.amdhsa_float_round_mode_16_64 0
		.amdhsa_float_denorm_mode_32 3
		.amdhsa_float_denorm_mode_16_64 3
		.amdhsa_dx10_clamp 1
		.amdhsa_ieee_mode 1
		.amdhsa_fp16_overflow 0
		.amdhsa_exception_fp_ieee_invalid_op 0
		.amdhsa_exception_fp_denorm_src 0
		.amdhsa_exception_fp_ieee_div_zero 0
		.amdhsa_exception_fp_ieee_overflow 0
		.amdhsa_exception_fp_ieee_underflow 0
		.amdhsa_exception_fp_ieee_inexact 0
		.amdhsa_exception_int_div_zero 0
	.end_amdhsa_kernel
	.text
.Lfunc_end1:
	.size	batched_transpose_16x16_half, .Lfunc_end1-batched_transpose_16x16_half
                                        ; -- End function
	.set batched_transpose_16x16_half.num_vgpr, 13
	.set batched_transpose_16x16_half.num_agpr, 0
	.set batched_transpose_16x16_half.numbered_sgpr, 26
	.set batched_transpose_16x16_half.num_named_barrier, 0
	.set batched_transpose_16x16_half.private_seg_size, 0
	.set batched_transpose_16x16_half.uses_vcc, 1
	.set batched_transpose_16x16_half.uses_flat_scratch, 0
	.set batched_transpose_16x16_half.has_dyn_sized_stack, 0
	.set batched_transpose_16x16_half.has_recursion, 0
	.set batched_transpose_16x16_half.has_indirect_call, 0
	.section	.AMDGPU.csdata,"",@progbits
; Kernel info:
; codeLenInByte = 448
; TotalNumSgprs: 30
; NumVgprs: 13
; ScratchSize: 0
; MemoryBound: 0
; FloatMode: 240
; IeeeMode: 1
; LDSByteSize: 576 bytes/workgroup (compile time only)
; SGPRBlocks: 3
; VGPRBlocks: 3
; NumSGPRsForWavesPerEU: 30
; NumVGPRsForWavesPerEU: 13
; Occupancy: 10
; WaveLimiterHint : 0
; COMPUTE_PGM_RSRC2:SCRATCH_EN: 0
; COMPUTE_PGM_RSRC2:USER_SGPR: 6
; COMPUTE_PGM_RSRC2:TRAP_HANDLER: 0
; COMPUTE_PGM_RSRC2:TGID_X_EN: 1
; COMPUTE_PGM_RSRC2:TGID_Y_EN: 0
; COMPUTE_PGM_RSRC2:TGID_Z_EN: 0
; COMPUTE_PGM_RSRC2:TIDIG_COMP_CNT: 0
	.text
	.protected	batched_transpose_16x16_byte ; -- Begin function batched_transpose_16x16_byte
	.globl	batched_transpose_16x16_byte
	.p2align	8
	.type	batched_transpose_16x16_byte,@function
batched_transpose_16x16_byte:           ; @batched_transpose_16x16_byte
; %bb.0:
	s_load_dwordx8 s[8:15], s[4:5], 0x10
	s_waitcnt lgkmcnt(0)
	s_cmp_ge_u32 s6, s11
	s_cbranch_scc1 .LBB2_7
; %bb.1:
	s_load_dwordx4 s[16:19], s[4:5], 0x0
	s_add_i32 s0, s8, 15
	s_lshr_b32 s2, s0, 4
	s_add_i32 s0, s9, 15
	v_and_b32_e32 v2, 15, v0
	v_lshrrev_b32_e32 v3, 4, v0
	v_mul_u32_u24_e32 v0, 20, v3
	v_mul_u32_u24_e32 v5, 20, v2
	s_and_b32 s0, s0, -16
	s_mov_b32 s3, s9
	s_sub_i32 s4, 0, s0
	s_lshl_b32 s5, s6, 4
	s_lshl_b32 s7, s10, 4
	v_mov_b32_e32 v1, 0
	v_add_u32_e32 v4, v0, v2
	v_add_u32_e32 v5, v5, v3
	s_branch .LBB2_3
.LBB2_2:                                ;   in Loop: Header=BB2_3 Depth=1
	s_or_b64 exec, exec, s[0:1]
	s_add_i32 s6, s6, s10
	s_add_i32 s5, s5, s7
	s_cmp_lt_u32 s6, s11
	s_cbranch_scc0 .LBB2_7
.LBB2_3:                                ; =>This Inner Loop Header: Depth=1
	s_mul_hi_u32 s0, s14, s6
	s_add_i32 s0, s6, s0
	s_lshr_b32 s0, s0, s15
	s_mul_hi_u32 s1, s0, s12
	s_add_i32 s1, s0, s1
	s_lshr_b32 s20, s1, s13
	s_mul_i32 s1, s20, s2
	s_sub_i32 s1, s0, s1
	s_mul_i32 s21, s4, s0
	s_add_i32 s21, s21, s5
	s_lshl_b32 s22, s1, 4
	v_add_u32_e32 v6, s21, v2
	v_or_b32_e32 v0, s22, v3
	v_cmp_gt_u32_e32 vcc, s8, v0
	v_cmp_gt_u32_e64 s[0:1], s9, v6
	s_and_b64 s[24:25], vcc, s[0:1]
	s_waitcnt vmcnt(0) lgkmcnt(0)
	s_barrier
	s_and_saveexec_b64 s[0:1], s[24:25]
	s_cbranch_execz .LBB2_5
; %bb.4:                                ;   in Loop: Header=BB2_3 Depth=1
	v_mov_b32_e32 v7, s8
	v_mad_u64_u32 v[7:8], s[24:25], s20, v7, v[0:1]
	v_mov_b32_e32 v9, s18
	v_mov_b32_e32 v10, s19
	v_mad_u64_u32 v[9:10], s[24:25], v7, s3, v[9:10]
	v_mov_b32_e32 v0, v10
	v_mad_u64_u32 v[7:8], s[24:25], v8, s3, v[0:1]
	v_add_co_u32_e32 v6, vcc, v9, v6
	v_addc_co_u32_e32 v7, vcc, 0, v7, vcc
	global_load_ubyte v0, v[6:7], off
	s_waitcnt vmcnt(0)
	ds_write_b8 v4, v0
.LBB2_5:                                ;   in Loop: Header=BB2_3 Depth=1
	s_or_b64 exec, exec, s[0:1]
	v_or_b32_e32 v6, s22, v2
	v_add_u32_e32 v0, s21, v3
	v_cmp_gt_u32_e32 vcc, s8, v6
	v_cmp_gt_u32_e64 s[0:1], s9, v0
	s_and_b64 s[22:23], s[0:1], vcc
	s_waitcnt lgkmcnt(0)
	s_barrier
	s_and_saveexec_b64 s[0:1], s[22:23]
	s_cbranch_execz .LBB2_2
; %bb.6:                                ;   in Loop: Header=BB2_3 Depth=1
	v_mov_b32_e32 v7, s3
	v_mad_u64_u32 v[7:8], s[20:21], s20, v7, v[0:1]
	v_mov_b32_e32 v9, s16
	v_mov_b32_e32 v10, s17
	v_mad_u64_u32 v[9:10], s[20:21], v7, s8, v[9:10]
	ds_read_u8 v11, v5
	v_mov_b32_e32 v0, v10
	v_mad_u64_u32 v[7:8], s[20:21], v8, s8, v[0:1]
	v_add_co_u32_e32 v6, vcc, v9, v6
	v_addc_co_u32_e32 v7, vcc, 0, v7, vcc
	s_waitcnt lgkmcnt(0)
	global_store_byte v[6:7], v11, off
	s_branch .LBB2_2
.LBB2_7:
	s_endpgm
	.section	.rodata,"a",@progbits
	.p2align	6, 0x0
	.amdhsa_kernel batched_transpose_16x16_byte
		.amdhsa_group_segment_fixed_size 320
		.amdhsa_private_segment_fixed_size 0
		.amdhsa_kernarg_size 48
		.amdhsa_user_sgpr_count 6
		.amdhsa_user_sgpr_private_segment_buffer 1
		.amdhsa_user_sgpr_dispatch_ptr 0
		.amdhsa_user_sgpr_queue_ptr 0
		.amdhsa_user_sgpr_kernarg_segment_ptr 1
		.amdhsa_user_sgpr_dispatch_id 0
		.amdhsa_user_sgpr_flat_scratch_init 0
		.amdhsa_user_sgpr_private_segment_size 0
		.amdhsa_uses_dynamic_stack 0
		.amdhsa_system_sgpr_private_segment_wavefront_offset 0
		.amdhsa_system_sgpr_workgroup_id_x 1
		.amdhsa_system_sgpr_workgroup_id_y 0
		.amdhsa_system_sgpr_workgroup_id_z 0
		.amdhsa_system_sgpr_workgroup_info 0
		.amdhsa_system_vgpr_workitem_id 0
		.amdhsa_next_free_vgpr 12
		.amdhsa_next_free_sgpr 26
		.amdhsa_reserve_vcc 1
		.amdhsa_reserve_flat_scratch 0
		.amdhsa_float_round_mode_32 0
		.amdhsa_float_round_mode_16_64 0
		.amdhsa_float_denorm_mode_32 3
		.amdhsa_float_denorm_mode_16_64 3
		.amdhsa_dx10_clamp 1
		.amdhsa_ieee_mode 1
		.amdhsa_fp16_overflow 0
		.amdhsa_exception_fp_ieee_invalid_op 0
		.amdhsa_exception_fp_denorm_src 0
		.amdhsa_exception_fp_ieee_div_zero 0
		.amdhsa_exception_fp_ieee_overflow 0
		.amdhsa_exception_fp_ieee_underflow 0
		.amdhsa_exception_fp_ieee_inexact 0
		.amdhsa_exception_int_div_zero 0
	.end_amdhsa_kernel
	.text
.Lfunc_end2:
	.size	batched_transpose_16x16_byte, .Lfunc_end2-batched_transpose_16x16_byte
                                        ; -- End function
	.set batched_transpose_16x16_byte.num_vgpr, 12
	.set batched_transpose_16x16_byte.num_agpr, 0
	.set batched_transpose_16x16_byte.numbered_sgpr, 26
	.set batched_transpose_16x16_byte.num_named_barrier, 0
	.set batched_transpose_16x16_byte.private_seg_size, 0
	.set batched_transpose_16x16_byte.uses_vcc, 1
	.set batched_transpose_16x16_byte.uses_flat_scratch, 0
	.set batched_transpose_16x16_byte.has_dyn_sized_stack, 0
	.set batched_transpose_16x16_byte.has_recursion, 0
	.set batched_transpose_16x16_byte.has_indirect_call, 0
	.section	.AMDGPU.csdata,"",@progbits
; Kernel info:
; codeLenInByte = 384
; TotalNumSgprs: 30
; NumVgprs: 12
; ScratchSize: 0
; MemoryBound: 0
; FloatMode: 240
; IeeeMode: 1
; LDSByteSize: 320 bytes/workgroup (compile time only)
; SGPRBlocks: 3
; VGPRBlocks: 2
; NumSGPRsForWavesPerEU: 30
; NumVGPRsForWavesPerEU: 12
; Occupancy: 10
; WaveLimiterHint : 0
; COMPUTE_PGM_RSRC2:SCRATCH_EN: 0
; COMPUTE_PGM_RSRC2:USER_SGPR: 6
; COMPUTE_PGM_RSRC2:TRAP_HANDLER: 0
; COMPUTE_PGM_RSRC2:TGID_X_EN: 1
; COMPUTE_PGM_RSRC2:TGID_Y_EN: 0
; COMPUTE_PGM_RSRC2:TGID_Z_EN: 0
; COMPUTE_PGM_RSRC2:TIDIG_COMP_CNT: 0
	.text
	.protected	batched_transpose_32x16_dword ; -- Begin function batched_transpose_32x16_dword
	.globl	batched_transpose_32x16_dword
	.p2align	8
	.type	batched_transpose_32x16_dword,@function
batched_transpose_32x16_dword:          ; @batched_transpose_32x16_dword
; %bb.0:
	s_load_dwordx8 s[8:15], s[4:5], 0x10
	s_waitcnt lgkmcnt(0)
	s_cmp_ge_u32 s6, s11
	s_cbranch_scc1 .LBB3_11
; %bb.1:
	s_load_dwordx4 s[16:19], s[4:5], 0x0
	s_add_i32 s0, s8, 15
	v_and_b32_e32 v5, 15, v0
	s_lshr_b32 s4, s0, 4
	v_lshrrev_b32_e32 v6, 4, v0
	v_lshlrev_b32_e32 v0, 2, v5
	s_movk_i32 s0, 0x44
	v_mad_u32_u24 v7, v6, s0, v0
	v_lshlrev_b32_e32 v0, 2, v6
	s_mov_b32 s1, 0
	v_mad_u32_u24 v8, v5, s0, v0
	s_lshl_b32 s0, s8, 4
	s_add_i32 s2, s9, 31
	s_lshl_b64 s[0:1], s[0:1], 2
	s_waitcnt lgkmcnt(0)
	s_add_u32 s7, s16, s0
	s_addc_u32 s20, s17, s1
	s_andn2_b32 s2, s2, 31
	s_mov_b32 s5, s9
	s_sub_i32 s21, 0, s2
	s_lshl_b32 s22, s6, 5
	s_lshl_b32 s23, s10, 5
	v_mov_b32_e32 v1, 0
	v_mov_b32_e32 v9, s8
	v_mov_b32_e32 v10, s9
                                        ; implicit-def: $vgpr11
                                        ; implicit-def: $vgpr12
	s_branch .LBB3_3
.LBB3_2:                                ;   in Loop: Header=BB3_3 Depth=1
	s_or_b64 exec, exec, s[0:1]
	s_add_i32 s6, s6, s10
	s_add_i32 s22, s22, s23
	s_cmp_lt_u32 s6, s11
	s_cbranch_scc0 .LBB3_11
.LBB3_3:                                ; =>This Inner Loop Header: Depth=1
	s_mul_hi_u32 s0, s14, s6
	s_add_i32 s0, s6, s0
	s_lshr_b32 s0, s0, s15
	s_mul_hi_u32 s1, s0, s12
	s_add_i32 s1, s0, s1
	s_lshr_b32 s24, s1, s13
	s_mul_i32 s1, s24, s4
	s_sub_i32 s1, s0, s1
	s_lshl_b32 s25, s1, 4
	v_or_b32_e32 v0, s25, v6
	s_mul_i32 s26, s21, s0
	v_mad_u64_u32 v[13:14], s[0:1], s24, v9, v[0:1]
	s_add_i32 s26, s26, s22
	v_add_u32_e32 v2, s26, v5
	v_mov_b32_e32 v3, v1
	s_waitcnt lgkmcnt(0)
	v_mad_u64_u32 v[3:4], s[0:1], v13, s5, v[2:3]
	v_cmp_gt_u32_e32 vcc, s8, v0
	v_mad_u64_u32 v[13:14], s[0:1], v14, s5, v[4:5]
	v_cmp_gt_u32_e64 s[0:1], s9, v2
	s_and_b64 s[0:1], vcc, s[0:1]
	v_mov_b32_e32 v4, v13
	v_lshlrev_b64 v[3:4], 2, v[3:4]
	s_waitcnt vmcnt(0)
	s_barrier
	s_and_saveexec_b64 s[2:3], s[0:1]
	s_cbranch_execz .LBB3_5
; %bb.4:                                ;   in Loop: Header=BB3_3 Depth=1
	v_mov_b32_e32 v0, s19
	v_add_co_u32_e64 v12, s[0:1], s18, v3
	v_addc_co_u32_e64 v13, s[0:1], v0, v4, s[0:1]
	global_load_dword v12, v[12:13], off
.LBB3_5:                                ;   in Loop: Header=BB3_3 Depth=1
	s_or_b64 exec, exec, s[2:3]
	v_add_u32_e32 v0, 16, v2
	v_cmp_gt_u32_e64 s[0:1], s9, v0
	s_and_b64 s[2:3], vcc, s[0:1]
	s_and_saveexec_b64 s[0:1], s[2:3]
	s_cbranch_execz .LBB3_7
; %bb.6:                                ;   in Loop: Header=BB3_3 Depth=1
	v_mov_b32_e32 v0, s19
	v_add_co_u32_e32 v2, vcc, s18, v3
	v_addc_co_u32_e32 v3, vcc, v0, v4, vcc
	global_load_dword v11, v[2:3], off offset:64
.LBB3_7:                                ;   in Loop: Header=BB3_3 Depth=1
	s_or_b64 exec, exec, s[0:1]
	v_add_u32_e32 v0, s26, v6
	v_mad_u64_u32 v[2:3], s[0:1], s24, v10, v[0:1]
	v_or_b32_e32 v13, s25, v5
	v_mov_b32_e32 v14, v1
	v_mad_u64_u32 v[14:15], s[0:1], v2, s8, v[13:14]
	s_waitcnt vmcnt(0)
	ds_write_b32 v7, v12
	ds_write_b32 v7, v11 offset:1088
	s_waitcnt lgkmcnt(0)
	v_mov_b32_e32 v2, v15
	v_mad_u64_u32 v[2:3], s[0:1], v3, s8, v[2:3]
	s_barrier
	ds_read_b32 v4, v8 offset:1088
	v_mov_b32_e32 v15, v2
	v_cmp_gt_u32_e32 vcc, s8, v13
	v_cmp_gt_u32_e64 s[0:1], s9, v0
	v_lshlrev_b64 v[2:3], 2, v[14:15]
	s_and_b64 s[0:1], s[0:1], vcc
	s_and_saveexec_b64 s[2:3], s[0:1]
	s_cbranch_execz .LBB3_9
; %bb.8:                                ;   in Loop: Header=BB3_3 Depth=1
	ds_read_b32 v15, v8
	v_mov_b32_e32 v14, s17
	v_add_co_u32_e64 v13, s[0:1], s16, v2
	v_addc_co_u32_e64 v14, s[0:1], v14, v3, s[0:1]
	s_waitcnt lgkmcnt(0)
	global_store_dword v[13:14], v15, off
.LBB3_9:                                ;   in Loop: Header=BB3_3 Depth=1
	s_or_b64 exec, exec, s[2:3]
	v_add_u32_e32 v0, 16, v0
	v_cmp_gt_u32_e64 s[0:1], s9, v0
	s_and_b64 s[2:3], s[0:1], vcc
	s_and_saveexec_b64 s[0:1], s[2:3]
	s_cbranch_execz .LBB3_2
; %bb.10:                               ;   in Loop: Header=BB3_3 Depth=1
	v_mov_b32_e32 v0, s20
	v_add_co_u32_e32 v2, vcc, s7, v2
	v_addc_co_u32_e32 v3, vcc, v0, v3, vcc
	s_waitcnt lgkmcnt(0)
	global_store_dword v[2:3], v4, off
	s_branch .LBB3_2
.LBB3_11:
	s_endpgm
	.section	.rodata,"a",@progbits
	.p2align	6, 0x0
	.amdhsa_kernel batched_transpose_32x16_dword
		.amdhsa_group_segment_fixed_size 2176
		.amdhsa_private_segment_fixed_size 0
		.amdhsa_kernarg_size 48
		.amdhsa_user_sgpr_count 6
		.amdhsa_user_sgpr_private_segment_buffer 1
		.amdhsa_user_sgpr_dispatch_ptr 0
		.amdhsa_user_sgpr_queue_ptr 0
		.amdhsa_user_sgpr_kernarg_segment_ptr 1
		.amdhsa_user_sgpr_dispatch_id 0
		.amdhsa_user_sgpr_flat_scratch_init 0
		.amdhsa_user_sgpr_private_segment_size 0
		.amdhsa_uses_dynamic_stack 0
		.amdhsa_system_sgpr_private_segment_wavefront_offset 0
		.amdhsa_system_sgpr_workgroup_id_x 1
		.amdhsa_system_sgpr_workgroup_id_y 0
		.amdhsa_system_sgpr_workgroup_id_z 0
		.amdhsa_system_sgpr_workgroup_info 0
		.amdhsa_system_vgpr_workitem_id 0
		.amdhsa_next_free_vgpr 16
		.amdhsa_next_free_sgpr 27
		.amdhsa_reserve_vcc 1
		.amdhsa_reserve_flat_scratch 0
		.amdhsa_float_round_mode_32 0
		.amdhsa_float_round_mode_16_64 0
		.amdhsa_float_denorm_mode_32 3
		.amdhsa_float_denorm_mode_16_64 3
		.amdhsa_dx10_clamp 1
		.amdhsa_ieee_mode 1
		.amdhsa_fp16_overflow 0
		.amdhsa_exception_fp_ieee_invalid_op 0
		.amdhsa_exception_fp_denorm_src 0
		.amdhsa_exception_fp_ieee_div_zero 0
		.amdhsa_exception_fp_ieee_overflow 0
		.amdhsa_exception_fp_ieee_underflow 0
		.amdhsa_exception_fp_ieee_inexact 0
		.amdhsa_exception_int_div_zero 0
	.end_amdhsa_kernel
	.text
.Lfunc_end3:
	.size	batched_transpose_32x16_dword, .Lfunc_end3-batched_transpose_32x16_dword
                                        ; -- End function
	.set batched_transpose_32x16_dword.num_vgpr, 16
	.set batched_transpose_32x16_dword.num_agpr, 0
	.set batched_transpose_32x16_dword.numbered_sgpr, 27
	.set batched_transpose_32x16_dword.num_named_barrier, 0
	.set batched_transpose_32x16_dword.private_seg_size, 0
	.set batched_transpose_32x16_dword.uses_vcc, 1
	.set batched_transpose_32x16_dword.uses_flat_scratch, 0
	.set batched_transpose_32x16_dword.has_dyn_sized_stack, 0
	.set batched_transpose_32x16_dword.has_recursion, 0
	.set batched_transpose_32x16_dword.has_indirect_call, 0
	.section	.AMDGPU.csdata,"",@progbits
; Kernel info:
; codeLenInByte = 576
; TotalNumSgprs: 31
; NumVgprs: 16
; ScratchSize: 0
; MemoryBound: 0
; FloatMode: 240
; IeeeMode: 1
; LDSByteSize: 2176 bytes/workgroup (compile time only)
; SGPRBlocks: 3
; VGPRBlocks: 3
; NumSGPRsForWavesPerEU: 31
; NumVGPRsForWavesPerEU: 16
; Occupancy: 10
; WaveLimiterHint : 0
; COMPUTE_PGM_RSRC2:SCRATCH_EN: 0
; COMPUTE_PGM_RSRC2:USER_SGPR: 6
; COMPUTE_PGM_RSRC2:TRAP_HANDLER: 0
; COMPUTE_PGM_RSRC2:TGID_X_EN: 1
; COMPUTE_PGM_RSRC2:TGID_Y_EN: 0
; COMPUTE_PGM_RSRC2:TGID_Z_EN: 0
; COMPUTE_PGM_RSRC2:TIDIG_COMP_CNT: 0
	.text
	.protected	batched_transpose_32x16_half ; -- Begin function batched_transpose_32x16_half
	.globl	batched_transpose_32x16_half
	.p2align	8
	.type	batched_transpose_32x16_half,@function
batched_transpose_32x16_half:           ; @batched_transpose_32x16_half
; %bb.0:
	s_load_dwordx8 s[8:15], s[4:5], 0x10
	s_waitcnt lgkmcnt(0)
	s_cmp_ge_u32 s6, s11
	s_cbranch_scc1 .LBB4_11
; %bb.1:
	s_load_dwordx4 s[16:19], s[4:5], 0x0
	s_add_i32 s0, s8, 15
	s_lshr_b32 s4, s0, 4
	s_mov_b32 s1, 0
	s_lshl_b32 s0, s8, 4
	s_add_i32 s2, s9, 31
	v_and_b32_e32 v5, 15, v0
	s_lshl_b64 s[0:1], s[0:1], 1
	v_lshrrev_b32_e32 v6, 4, v0
	v_lshlrev_b32_e32 v0, 1, v5
	s_waitcnt lgkmcnt(0)
	s_add_u32 s7, s16, s0
	v_mad_u32_u24 v7, v6, 36, v0
	v_lshlrev_b32_e32 v0, 1, v6
	s_addc_u32 s20, s17, s1
	s_andn2_b32 s2, s2, 31
	s_mov_b32 s5, s9
	v_mad_u32_u24 v8, v5, 36, v0
	s_sub_i32 s21, 0, s2
	s_lshl_b32 s22, s6, 5
	s_lshl_b32 s23, s10, 5
	v_mov_b32_e32 v1, 0
	v_mov_b32_e32 v9, s8
                                        ; implicit-def: $vgpr10
                                        ; implicit-def: $vgpr11
	s_branch .LBB4_3
.LBB4_2:                                ;   in Loop: Header=BB4_3 Depth=1
	s_or_b64 exec, exec, s[0:1]
	s_add_i32 s6, s6, s10
	s_add_i32 s22, s22, s23
	s_cmp_lt_u32 s6, s11
	s_cbranch_scc0 .LBB4_11
.LBB4_3:                                ; =>This Inner Loop Header: Depth=1
	s_mul_hi_u32 s0, s14, s6
	s_add_i32 s0, s6, s0
	s_lshr_b32 s0, s0, s15
	s_mul_hi_u32 s1, s0, s12
	s_add_i32 s1, s0, s1
	s_lshr_b32 s24, s1, s13
	s_mul_i32 s1, s24, s4
	s_sub_i32 s1, s0, s1
	s_lshl_b32 s25, s1, 4
	v_or_b32_e32 v0, s25, v6
	s_mul_i32 s26, s21, s0
	v_mad_u64_u32 v[12:13], s[0:1], s24, v9, v[0:1]
	s_add_i32 s26, s26, s22
	v_add_u32_e32 v2, s26, v5
	v_mov_b32_e32 v3, v1
	s_waitcnt lgkmcnt(0)
	v_mad_u64_u32 v[3:4], s[0:1], v12, s5, v[2:3]
	v_cmp_gt_u32_e32 vcc, s8, v0
	v_mad_u64_u32 v[12:13], s[0:1], v13, s5, v[4:5]
	v_cmp_gt_u32_e64 s[0:1], s9, v2
	s_and_b64 s[0:1], vcc, s[0:1]
	v_mov_b32_e32 v4, v12
	v_lshlrev_b64 v[3:4], 1, v[3:4]
	s_waitcnt vmcnt(0)
	s_barrier
	s_and_saveexec_b64 s[2:3], s[0:1]
	s_cbranch_execz .LBB4_5
; %bb.4:                                ;   in Loop: Header=BB4_3 Depth=1
	v_mov_b32_e32 v0, s19
	v_add_co_u32_e64 v11, s[0:1], s18, v3
	v_addc_co_u32_e64 v12, s[0:1], v0, v4, s[0:1]
	global_load_ushort v11, v[11:12], off
.LBB4_5:                                ;   in Loop: Header=BB4_3 Depth=1
	s_or_b64 exec, exec, s[2:3]
	v_add_u32_e32 v0, 16, v2
	v_cmp_gt_u32_e64 s[0:1], s9, v0
	s_and_b64 s[2:3], vcc, s[0:1]
	s_and_saveexec_b64 s[0:1], s[2:3]
	s_cbranch_execz .LBB4_7
; %bb.6:                                ;   in Loop: Header=BB4_3 Depth=1
	v_mov_b32_e32 v0, s19
	v_add_co_u32_e32 v2, vcc, s18, v3
	v_addc_co_u32_e32 v3, vcc, v0, v4, vcc
	global_load_ushort v10, v[2:3], off offset:32
.LBB4_7:                                ;   in Loop: Header=BB4_3 Depth=1
	s_or_b64 exec, exec, s[0:1]
	v_add_u32_e32 v0, s26, v6
	v_mov_b32_e32 v2, s5
	v_mad_u64_u32 v[2:3], s[0:1], s24, v2, v[0:1]
	v_or_b32_e32 v12, s25, v5
	v_mov_b32_e32 v13, v1
	v_mad_u64_u32 v[13:14], s[0:1], v2, s8, v[12:13]
	s_waitcnt vmcnt(0)
	ds_write_b16 v7, v11
	ds_write_b16 v7, v10 offset:576
	s_waitcnt lgkmcnt(0)
	v_mov_b32_e32 v2, v14
	v_mad_u64_u32 v[2:3], s[0:1], v3, s8, v[2:3]
	s_barrier
	ds_read_u16 v4, v8 offset:576
	v_mov_b32_e32 v14, v2
	v_cmp_gt_u32_e32 vcc, s8, v12
	v_cmp_gt_u32_e64 s[0:1], s9, v0
	v_lshlrev_b64 v[2:3], 1, v[13:14]
	s_and_b64 s[0:1], s[0:1], vcc
	s_and_saveexec_b64 s[2:3], s[0:1]
	s_cbranch_execz .LBB4_9
; %bb.8:                                ;   in Loop: Header=BB4_3 Depth=1
	ds_read_u16 v14, v8
	v_mov_b32_e32 v13, s17
	v_add_co_u32_e64 v12, s[0:1], s16, v2
	v_addc_co_u32_e64 v13, s[0:1], v13, v3, s[0:1]
	s_waitcnt lgkmcnt(0)
	global_store_short v[12:13], v14, off
.LBB4_9:                                ;   in Loop: Header=BB4_3 Depth=1
	s_or_b64 exec, exec, s[2:3]
	v_add_u32_e32 v0, 16, v0
	v_cmp_gt_u32_e64 s[0:1], s9, v0
	s_and_b64 s[2:3], s[0:1], vcc
	s_and_saveexec_b64 s[0:1], s[2:3]
	s_cbranch_execz .LBB4_2
; %bb.10:                               ;   in Loop: Header=BB4_3 Depth=1
	v_mov_b32_e32 v0, s20
	v_add_co_u32_e32 v2, vcc, s7, v2
	v_addc_co_u32_e32 v3, vcc, v0, v3, vcc
	s_waitcnt lgkmcnt(0)
	global_store_short v[2:3], v4, off
	s_branch .LBB4_2
.LBB4_11:
	s_endpgm
	.section	.rodata,"a",@progbits
	.p2align	6, 0x0
	.amdhsa_kernel batched_transpose_32x16_half
		.amdhsa_group_segment_fixed_size 1152
		.amdhsa_private_segment_fixed_size 0
		.amdhsa_kernarg_size 48
		.amdhsa_user_sgpr_count 6
		.amdhsa_user_sgpr_private_segment_buffer 1
		.amdhsa_user_sgpr_dispatch_ptr 0
		.amdhsa_user_sgpr_queue_ptr 0
		.amdhsa_user_sgpr_kernarg_segment_ptr 1
		.amdhsa_user_sgpr_dispatch_id 0
		.amdhsa_user_sgpr_flat_scratch_init 0
		.amdhsa_user_sgpr_private_segment_size 0
		.amdhsa_uses_dynamic_stack 0
		.amdhsa_system_sgpr_private_segment_wavefront_offset 0
		.amdhsa_system_sgpr_workgroup_id_x 1
		.amdhsa_system_sgpr_workgroup_id_y 0
		.amdhsa_system_sgpr_workgroup_id_z 0
		.amdhsa_system_sgpr_workgroup_info 0
		.amdhsa_system_vgpr_workitem_id 0
		.amdhsa_next_free_vgpr 15
		.amdhsa_next_free_sgpr 27
		.amdhsa_reserve_vcc 1
		.amdhsa_reserve_flat_scratch 0
		.amdhsa_float_round_mode_32 0
		.amdhsa_float_round_mode_16_64 0
		.amdhsa_float_denorm_mode_32 3
		.amdhsa_float_denorm_mode_16_64 3
		.amdhsa_dx10_clamp 1
		.amdhsa_ieee_mode 1
		.amdhsa_fp16_overflow 0
		.amdhsa_exception_fp_ieee_invalid_op 0
		.amdhsa_exception_fp_denorm_src 0
		.amdhsa_exception_fp_ieee_div_zero 0
		.amdhsa_exception_fp_ieee_overflow 0
		.amdhsa_exception_fp_ieee_underflow 0
		.amdhsa_exception_fp_ieee_inexact 0
		.amdhsa_exception_int_div_zero 0
	.end_amdhsa_kernel
	.text
.Lfunc_end4:
	.size	batched_transpose_32x16_half, .Lfunc_end4-batched_transpose_32x16_half
                                        ; -- End function
	.set batched_transpose_32x16_half.num_vgpr, 15
	.set batched_transpose_32x16_half.num_agpr, 0
	.set batched_transpose_32x16_half.numbered_sgpr, 27
	.set batched_transpose_32x16_half.num_named_barrier, 0
	.set batched_transpose_32x16_half.private_seg_size, 0
	.set batched_transpose_32x16_half.uses_vcc, 1
	.set batched_transpose_32x16_half.uses_flat_scratch, 0
	.set batched_transpose_32x16_half.has_dyn_sized_stack, 0
	.set batched_transpose_32x16_half.has_recursion, 0
	.set batched_transpose_32x16_half.has_indirect_call, 0
	.section	.AMDGPU.csdata,"",@progbits
; Kernel info:
; codeLenInByte = 572
; TotalNumSgprs: 31
; NumVgprs: 15
; ScratchSize: 0
; MemoryBound: 0
; FloatMode: 240
; IeeeMode: 1
; LDSByteSize: 1152 bytes/workgroup (compile time only)
; SGPRBlocks: 3
; VGPRBlocks: 3
; NumSGPRsForWavesPerEU: 31
; NumVGPRsForWavesPerEU: 15
; Occupancy: 10
; WaveLimiterHint : 0
; COMPUTE_PGM_RSRC2:SCRATCH_EN: 0
; COMPUTE_PGM_RSRC2:USER_SGPR: 6
; COMPUTE_PGM_RSRC2:TRAP_HANDLER: 0
; COMPUTE_PGM_RSRC2:TGID_X_EN: 1
; COMPUTE_PGM_RSRC2:TGID_Y_EN: 0
; COMPUTE_PGM_RSRC2:TGID_Z_EN: 0
; COMPUTE_PGM_RSRC2:TIDIG_COMP_CNT: 0
	.text
	.protected	batched_transpose_32x16_byte ; -- Begin function batched_transpose_32x16_byte
	.globl	batched_transpose_32x16_byte
	.p2align	8
	.type	batched_transpose_32x16_byte,@function
batched_transpose_32x16_byte:           ; @batched_transpose_32x16_byte
; %bb.0:
	s_load_dwordx8 s[8:15], s[4:5], 0x10
	s_waitcnt lgkmcnt(0)
	s_cmp_ge_u32 s6, s11
	s_cbranch_scc1 .LBB5_11
; %bb.1:
	s_load_dwordx4 s[16:19], s[4:5], 0x0
	s_add_i32 s0, s8, 15
	s_lshr_b32 s4, s0, 4
	s_add_i32 s0, s9, 31
	s_lshl_b32 s1, s8, 4
	v_and_b32_e32 v7, 15, v0
	v_lshrrev_b32_e32 v8, 4, v0
	s_waitcnt lgkmcnt(0)
	s_add_u32 s7, s16, s1
	v_mul_u32_u24_e32 v0, 20, v8
	v_mul_u32_u24_e32 v2, 20, v7
	s_addc_u32 s20, s17, 0
	s_andn2_b32 s0, s0, 31
	s_mov_b32 s5, s9
	s_sub_i32 s21, 0, s0
	s_lshl_b32 s22, s6, 5
	s_lshl_b32 s23, s10, 5
	v_mov_b32_e32 v1, 0
	v_mov_b32_e32 v9, s8
	v_add_u32_e32 v10, v0, v7
	v_mov_b32_e32 v11, s9
	v_add_u32_e32 v12, v2, v8
                                        ; implicit-def: $vgpr13
                                        ; implicit-def: $vgpr14
	s_branch .LBB5_3
.LBB5_2:                                ;   in Loop: Header=BB5_3 Depth=1
	s_or_b64 exec, exec, s[0:1]
	s_add_i32 s6, s6, s10
	s_add_i32 s22, s22, s23
	s_cmp_lt_u32 s6, s11
	s_cbranch_scc0 .LBB5_11
.LBB5_3:                                ; =>This Inner Loop Header: Depth=1
	s_mul_hi_u32 s0, s14, s6
	s_add_i32 s0, s6, s0
	s_lshr_b32 s0, s0, s15
	s_mul_hi_u32 s1, s0, s12
	s_add_i32 s1, s0, s1
	s_lshr_b32 s24, s1, s13
	s_mul_i32 s1, s24, s4
	s_sub_i32 s1, s0, s1
	s_lshl_b32 s25, s1, 4
	v_or_b32_e32 v0, s25, v8
	s_mul_i32 s26, s21, s0
	v_mad_u64_u32 v[3:4], s[0:1], s24, v9, v[0:1]
	s_add_i32 s26, s26, s22
	s_waitcnt lgkmcnt(0)
	v_add_u32_e32 v5, s26, v7
	v_mov_b32_e32 v6, v1
	v_mad_u64_u32 v[2:3], s[0:1], v3, s5, v[5:6]
	v_cmp_gt_u32_e32 vcc, s8, v0
	v_mad_u64_u32 v[3:4], s[0:1], v4, s5, v[3:4]
	v_cmp_gt_u32_e64 s[0:1], s9, v5
	s_and_b64 s[0:1], vcc, s[0:1]
	s_waitcnt vmcnt(0)
	s_barrier
	s_and_saveexec_b64 s[2:3], s[0:1]
	s_cbranch_execz .LBB5_5
; %bb.4:                                ;   in Loop: Header=BB5_3 Depth=1
	v_mov_b32_e32 v0, s19
	v_add_co_u32_e64 v14, s[0:1], s18, v2
	v_addc_co_u32_e64 v15, s[0:1], v0, v3, s[0:1]
	global_load_ubyte v14, v[14:15], off
.LBB5_5:                                ;   in Loop: Header=BB5_3 Depth=1
	s_or_b64 exec, exec, s[2:3]
	v_add_u32_e32 v0, 16, v5
	v_cmp_gt_u32_e64 s[0:1], s9, v0
	s_and_b64 s[2:3], vcc, s[0:1]
	s_and_saveexec_b64 s[0:1], s[2:3]
	s_cbranch_execz .LBB5_7
; %bb.6:                                ;   in Loop: Header=BB5_3 Depth=1
	v_mov_b32_e32 v0, s19
	v_add_co_u32_e32 v2, vcc, s18, v2
	v_addc_co_u32_e32 v3, vcc, v0, v3, vcc
	global_load_ubyte v13, v[2:3], off offset:16
.LBB5_7:                                ;   in Loop: Header=BB5_3 Depth=1
	s_or_b64 exec, exec, s[0:1]
	v_add_u32_e32 v0, s26, v8
	v_mad_u64_u32 v[3:4], s[0:1], s24, v11, v[0:1]
	v_or_b32_e32 v15, s25, v7
	v_mov_b32_e32 v16, v1
	v_mad_u64_u32 v[2:3], s[0:1], v3, s8, v[15:16]
	s_waitcnt vmcnt(0)
	ds_write_b8 v10, v14
	ds_write_b8 v10, v13 offset:320
	s_waitcnt lgkmcnt(0)
	s_barrier
	ds_read_u8 v5, v12 offset:320
	v_mad_u64_u32 v[3:4], s[0:1], v4, s8, v[3:4]
	v_cmp_gt_u32_e32 vcc, s8, v15
	v_cmp_gt_u32_e64 s[0:1], s9, v0
	s_and_b64 s[0:1], s[0:1], vcc
	s_and_saveexec_b64 s[2:3], s[0:1]
	s_cbranch_execz .LBB5_9
; %bb.8:                                ;   in Loop: Header=BB5_3 Depth=1
	ds_read_u8 v6, v12
	v_mov_b32_e32 v4, s17
	v_add_co_u32_e64 v15, s[0:1], s16, v2
	v_addc_co_u32_e64 v16, s[0:1], v4, v3, s[0:1]
	s_waitcnt lgkmcnt(0)
	global_store_byte v[15:16], v6, off
.LBB5_9:                                ;   in Loop: Header=BB5_3 Depth=1
	s_or_b64 exec, exec, s[2:3]
	v_add_u32_e32 v0, 16, v0
	v_cmp_gt_u32_e64 s[0:1], s9, v0
	s_and_b64 s[2:3], s[0:1], vcc
	s_and_saveexec_b64 s[0:1], s[2:3]
	s_cbranch_execz .LBB5_2
; %bb.10:                               ;   in Loop: Header=BB5_3 Depth=1
	v_mov_b32_e32 v0, s20
	v_add_co_u32_e32 v2, vcc, s7, v2
	v_addc_co_u32_e32 v3, vcc, v0, v3, vcc
	s_waitcnt lgkmcnt(0)
	global_store_byte v[2:3], v5, off
	s_branch .LBB5_2
.LBB5_11:
	s_endpgm
	.section	.rodata,"a",@progbits
	.p2align	6, 0x0
	.amdhsa_kernel batched_transpose_32x16_byte
		.amdhsa_group_segment_fixed_size 640
		.amdhsa_private_segment_fixed_size 0
		.amdhsa_kernarg_size 48
		.amdhsa_user_sgpr_count 6
		.amdhsa_user_sgpr_private_segment_buffer 1
		.amdhsa_user_sgpr_dispatch_ptr 0
		.amdhsa_user_sgpr_queue_ptr 0
		.amdhsa_user_sgpr_kernarg_segment_ptr 1
		.amdhsa_user_sgpr_dispatch_id 0
		.amdhsa_user_sgpr_flat_scratch_init 0
		.amdhsa_user_sgpr_private_segment_size 0
		.amdhsa_uses_dynamic_stack 0
		.amdhsa_system_sgpr_private_segment_wavefront_offset 0
		.amdhsa_system_sgpr_workgroup_id_x 1
		.amdhsa_system_sgpr_workgroup_id_y 0
		.amdhsa_system_sgpr_workgroup_id_z 0
		.amdhsa_system_sgpr_workgroup_info 0
		.amdhsa_system_vgpr_workitem_id 0
		.amdhsa_next_free_vgpr 17
		.amdhsa_next_free_sgpr 27
		.amdhsa_reserve_vcc 1
		.amdhsa_reserve_flat_scratch 0
		.amdhsa_float_round_mode_32 0
		.amdhsa_float_round_mode_16_64 0
		.amdhsa_float_denorm_mode_32 3
		.amdhsa_float_denorm_mode_16_64 3
		.amdhsa_dx10_clamp 1
		.amdhsa_ieee_mode 1
		.amdhsa_fp16_overflow 0
		.amdhsa_exception_fp_ieee_invalid_op 0
		.amdhsa_exception_fp_denorm_src 0
		.amdhsa_exception_fp_ieee_div_zero 0
		.amdhsa_exception_fp_ieee_overflow 0
		.amdhsa_exception_fp_ieee_underflow 0
		.amdhsa_exception_fp_ieee_inexact 0
		.amdhsa_exception_int_div_zero 0
	.end_amdhsa_kernel
	.text
.Lfunc_end5:
	.size	batched_transpose_32x16_byte, .Lfunc_end5-batched_transpose_32x16_byte
                                        ; -- End function
	.set batched_transpose_32x16_byte.num_vgpr, 17
	.set batched_transpose_32x16_byte.num_agpr, 0
	.set batched_transpose_32x16_byte.numbered_sgpr, 27
	.set batched_transpose_32x16_byte.num_named_barrier, 0
	.set batched_transpose_32x16_byte.private_seg_size, 0
	.set batched_transpose_32x16_byte.uses_vcc, 1
	.set batched_transpose_32x16_byte.uses_flat_scratch, 0
	.set batched_transpose_32x16_byte.has_dyn_sized_stack, 0
	.set batched_transpose_32x16_byte.has_recursion, 0
	.set batched_transpose_32x16_byte.has_indirect_call, 0
	.section	.AMDGPU.csdata,"",@progbits
; Kernel info:
; codeLenInByte = 528
; TotalNumSgprs: 31
; NumVgprs: 17
; ScratchSize: 0
; MemoryBound: 0
; FloatMode: 240
; IeeeMode: 1
; LDSByteSize: 640 bytes/workgroup (compile time only)
; SGPRBlocks: 3
; VGPRBlocks: 4
; NumSGPRsForWavesPerEU: 31
; NumVGPRsForWavesPerEU: 17
; Occupancy: 10
; WaveLimiterHint : 0
; COMPUTE_PGM_RSRC2:SCRATCH_EN: 0
; COMPUTE_PGM_RSRC2:USER_SGPR: 6
; COMPUTE_PGM_RSRC2:TRAP_HANDLER: 0
; COMPUTE_PGM_RSRC2:TGID_X_EN: 1
; COMPUTE_PGM_RSRC2:TGID_Y_EN: 0
; COMPUTE_PGM_RSRC2:TGID_Z_EN: 0
; COMPUTE_PGM_RSRC2:TIDIG_COMP_CNT: 0
	.text
	.protected	batched_transpose_16x32_dword ; -- Begin function batched_transpose_16x32_dword
	.globl	batched_transpose_16x32_dword
	.p2align	8
	.type	batched_transpose_16x32_dword,@function
batched_transpose_16x32_dword:          ; @batched_transpose_16x32_dword
; %bb.0:
	s_load_dwordx8 s[8:15], s[4:5], 0x10
	s_waitcnt lgkmcnt(0)
	s_cmp_ge_u32 s6, s11
	s_cbranch_scc1 .LBB6_11
; %bb.1:
	s_load_dwordx4 s[16:19], s[4:5], 0x0
	s_add_i32 s0, s8, 31
	s_lshr_b32 s4, s0, 5
	s_mov_b32 s1, 0
	s_lshl_b32 s0, s9, 4
	s_add_i32 s2, s9, 15
	v_and_b32_e32 v5, 15, v0
	s_lshl_b64 s[0:1], s[0:1], 2
	v_lshrrev_b32_e32 v6, 4, v0
	s_waitcnt lgkmcnt(0)
	s_add_u32 s7, s18, s0
	v_lshlrev_b32_e32 v0, 2, v5
	s_movk_i32 s0, 0x44
	v_mad_u32_u24 v7, v6, s0, v0
	v_lshlrev_b32_e32 v0, 2, v6
	s_addc_u32 s20, s19, s1
	v_mad_u32_u24 v8, v5, s0, v0
	s_and_b32 s0, s2, -16
	s_mov_b32 s5, s9
	s_sub_i32 s21, 0, s0
	s_lshl_b32 s22, s6, 4
	s_lshl_b32 s23, s10, 4
	v_mov_b32_e32 v1, 0
	v_mov_b32_e32 v9, s8
	;; [unrolled: 1-line block ×3, first 2 shown]
                                        ; implicit-def: $vgpr11
                                        ; implicit-def: $vgpr12
	s_branch .LBB6_3
.LBB6_2:                                ;   in Loop: Header=BB6_3 Depth=1
	s_or_b64 exec, exec, s[0:1]
	s_add_i32 s6, s6, s10
	s_add_i32 s22, s22, s23
	s_cmp_lt_u32 s6, s11
	s_cbranch_scc0 .LBB6_11
.LBB6_3:                                ; =>This Inner Loop Header: Depth=1
	s_mul_hi_u32 s0, s14, s6
	s_add_i32 s0, s6, s0
	s_lshr_b32 s0, s0, s15
	s_mul_hi_u32 s1, s0, s12
	s_add_i32 s1, s0, s1
	s_lshr_b32 s24, s1, s13
	s_mul_i32 s1, s24, s4
	s_sub_i32 s1, s0, s1
	s_lshl_b32 s25, s1, 5
	v_or_b32_e32 v0, s25, v6
	s_mul_i32 s26, s21, s0
	v_mad_u64_u32 v[2:3], s[0:1], s24, v9, v[0:1]
	s_add_i32 s26, s26, s22
	s_waitcnt lgkmcnt(0)
	v_add_u32_e32 v13, s26, v5
	v_mov_b32_e32 v14, v1
	v_mad_u64_u32 v[14:15], s[0:1], v2, s5, v[13:14]
	v_cmp_gt_u32_e32 vcc, s9, v13
	v_mov_b32_e32 v2, v15
	v_mad_u64_u32 v[2:3], s[0:1], v3, s5, v[2:3]
	v_cmp_gt_u32_e64 s[0:1], s8, v0
	s_and_b64 s[0:1], s[0:1], vcc
	v_mov_b32_e32 v15, v2
	v_lshlrev_b64 v[2:3], 2, v[14:15]
	s_waitcnt vmcnt(0)
	s_barrier
	s_and_saveexec_b64 s[2:3], s[0:1]
	s_cbranch_execz .LBB6_5
; %bb.4:                                ;   in Loop: Header=BB6_3 Depth=1
	v_mov_b32_e32 v4, s19
	v_add_co_u32_e64 v12, s[0:1], s18, v2
	v_addc_co_u32_e64 v13, s[0:1], v4, v3, s[0:1]
	global_load_dword v12, v[12:13], off
.LBB6_5:                                ;   in Loop: Header=BB6_3 Depth=1
	s_or_b64 exec, exec, s[2:3]
	v_add_u32_e32 v0, 16, v0
	v_cmp_gt_u32_e64 s[0:1], s8, v0
	s_and_b64 s[2:3], s[0:1], vcc
	s_and_saveexec_b64 s[0:1], s[2:3]
	s_cbranch_execz .LBB6_7
; %bb.6:                                ;   in Loop: Header=BB6_3 Depth=1
	v_mov_b32_e32 v0, s20
	v_add_co_u32_e32 v2, vcc, s7, v2
	v_addc_co_u32_e32 v3, vcc, v0, v3, vcc
	global_load_dword v11, v[2:3], off
.LBB6_7:                                ;   in Loop: Header=BB6_3 Depth=1
	s_or_b64 exec, exec, s[0:1]
	v_add_u32_e32 v0, s26, v6
	v_mad_u64_u32 v[13:14], s[0:1], s24, v10, v[0:1]
	v_or_b32_e32 v2, s25, v5
	v_mov_b32_e32 v3, v1
	v_mad_u64_u32 v[3:4], s[0:1], v13, s8, v[2:3]
	s_waitcnt vmcnt(0)
	ds_write_b32 v7, v12
	ds_write_b32 v7, v11 offset:1088
	s_waitcnt lgkmcnt(0)
	v_mad_u64_u32 v[13:14], s[0:1], v14, s8, v[4:5]
	s_barrier
	v_mov_b32_e32 v4, v13
	ds_read_b32 v13, v8 offset:1088
	v_cmp_gt_u32_e64 s[0:1], s8, v2
	v_cmp_gt_u32_e32 vcc, s9, v0
	v_lshlrev_b64 v[3:4], 2, v[3:4]
	s_and_b64 s[0:1], vcc, s[0:1]
	s_and_saveexec_b64 s[2:3], s[0:1]
	s_cbranch_execz .LBB6_9
; %bb.8:                                ;   in Loop: Header=BB6_3 Depth=1
	ds_read_b32 v16, v8
	v_mov_b32_e32 v0, s17
	v_add_co_u32_e64 v14, s[0:1], s16, v3
	v_addc_co_u32_e64 v15, s[0:1], v0, v4, s[0:1]
	s_waitcnt lgkmcnt(0)
	global_store_dword v[14:15], v16, off
.LBB6_9:                                ;   in Loop: Header=BB6_3 Depth=1
	s_or_b64 exec, exec, s[2:3]
	v_or_b32_e32 v0, 16, v2
	v_cmp_gt_u32_e64 s[0:1], s8, v0
	s_and_b64 s[2:3], vcc, s[0:1]
	s_and_saveexec_b64 s[0:1], s[2:3]
	s_cbranch_execz .LBB6_2
; %bb.10:                               ;   in Loop: Header=BB6_3 Depth=1
	v_mov_b32_e32 v0, s17
	v_add_co_u32_e32 v2, vcc, s16, v3
	v_addc_co_u32_e32 v3, vcc, v0, v4, vcc
	s_waitcnt lgkmcnt(0)
	global_store_dword v[2:3], v13, off offset:64
	s_branch .LBB6_2
.LBB6_11:
	s_endpgm
	.section	.rodata,"a",@progbits
	.p2align	6, 0x0
	.amdhsa_kernel batched_transpose_16x32_dword
		.amdhsa_group_segment_fixed_size 2176
		.amdhsa_private_segment_fixed_size 0
		.amdhsa_kernarg_size 48
		.amdhsa_user_sgpr_count 6
		.amdhsa_user_sgpr_private_segment_buffer 1
		.amdhsa_user_sgpr_dispatch_ptr 0
		.amdhsa_user_sgpr_queue_ptr 0
		.amdhsa_user_sgpr_kernarg_segment_ptr 1
		.amdhsa_user_sgpr_dispatch_id 0
		.amdhsa_user_sgpr_flat_scratch_init 0
		.amdhsa_user_sgpr_private_segment_size 0
		.amdhsa_uses_dynamic_stack 0
		.amdhsa_system_sgpr_private_segment_wavefront_offset 0
		.amdhsa_system_sgpr_workgroup_id_x 1
		.amdhsa_system_sgpr_workgroup_id_y 0
		.amdhsa_system_sgpr_workgroup_id_z 0
		.amdhsa_system_sgpr_workgroup_info 0
		.amdhsa_system_vgpr_workitem_id 0
		.amdhsa_next_free_vgpr 17
		.amdhsa_next_free_sgpr 27
		.amdhsa_reserve_vcc 1
		.amdhsa_reserve_flat_scratch 0
		.amdhsa_float_round_mode_32 0
		.amdhsa_float_round_mode_16_64 0
		.amdhsa_float_denorm_mode_32 3
		.amdhsa_float_denorm_mode_16_64 3
		.amdhsa_dx10_clamp 1
		.amdhsa_ieee_mode 1
		.amdhsa_fp16_overflow 0
		.amdhsa_exception_fp_ieee_invalid_op 0
		.amdhsa_exception_fp_denorm_src 0
		.amdhsa_exception_fp_ieee_div_zero 0
		.amdhsa_exception_fp_ieee_overflow 0
		.amdhsa_exception_fp_ieee_underflow 0
		.amdhsa_exception_fp_ieee_inexact 0
		.amdhsa_exception_int_div_zero 0
	.end_amdhsa_kernel
	.text
.Lfunc_end6:
	.size	batched_transpose_16x32_dword, .Lfunc_end6-batched_transpose_16x32_dword
                                        ; -- End function
	.set batched_transpose_16x32_dword.num_vgpr, 17
	.set batched_transpose_16x32_dword.num_agpr, 0
	.set batched_transpose_16x32_dword.numbered_sgpr, 27
	.set batched_transpose_16x32_dword.num_named_barrier, 0
	.set batched_transpose_16x32_dword.private_seg_size, 0
	.set batched_transpose_16x32_dword.uses_vcc, 1
	.set batched_transpose_16x32_dword.uses_flat_scratch, 0
	.set batched_transpose_16x32_dword.has_dyn_sized_stack, 0
	.set batched_transpose_16x32_dword.has_recursion, 0
	.set batched_transpose_16x32_dword.has_indirect_call, 0
	.section	.AMDGPU.csdata,"",@progbits
; Kernel info:
; codeLenInByte = 576
; TotalNumSgprs: 31
; NumVgprs: 17
; ScratchSize: 0
; MemoryBound: 0
; FloatMode: 240
; IeeeMode: 1
; LDSByteSize: 2176 bytes/workgroup (compile time only)
; SGPRBlocks: 3
; VGPRBlocks: 4
; NumSGPRsForWavesPerEU: 31
; NumVGPRsForWavesPerEU: 17
; Occupancy: 10
; WaveLimiterHint : 0
; COMPUTE_PGM_RSRC2:SCRATCH_EN: 0
; COMPUTE_PGM_RSRC2:USER_SGPR: 6
; COMPUTE_PGM_RSRC2:TRAP_HANDLER: 0
; COMPUTE_PGM_RSRC2:TGID_X_EN: 1
; COMPUTE_PGM_RSRC2:TGID_Y_EN: 0
; COMPUTE_PGM_RSRC2:TGID_Z_EN: 0
; COMPUTE_PGM_RSRC2:TIDIG_COMP_CNT: 0
	.text
	.protected	batched_transpose_16x32_half ; -- Begin function batched_transpose_16x32_half
	.globl	batched_transpose_16x32_half
	.p2align	8
	.type	batched_transpose_16x32_half,@function
batched_transpose_16x32_half:           ; @batched_transpose_16x32_half
; %bb.0:
	s_load_dwordx8 s[8:15], s[4:5], 0x10
	s_waitcnt lgkmcnt(0)
	s_cmp_ge_u32 s6, s11
	s_cbranch_scc1 .LBB7_11
; %bb.1:
	s_load_dwordx4 s[16:19], s[4:5], 0x0
	s_add_i32 s0, s8, 31
	s_lshr_b32 s4, s0, 5
	s_mov_b32 s1, 0
	s_lshl_b32 s0, s9, 4
	s_add_i32 s2, s9, 15
	v_and_b32_e32 v5, 15, v0
	s_lshl_b64 s[0:1], s[0:1], 1
	v_lshrrev_b32_e32 v6, 4, v0
	s_waitcnt lgkmcnt(0)
	s_add_u32 s7, s18, s0
	v_lshlrev_b32_e32 v0, 1, v5
	s_addc_u32 s20, s19, s1
	v_mad_u32_u24 v7, v6, 36, v0
	v_lshlrev_b32_e32 v0, 1, v6
	s_and_b32 s0, s2, -16
	s_mov_b32 s5, s9
	v_mad_u32_u24 v8, v5, 36, v0
	s_sub_i32 s21, 0, s0
	s_lshl_b32 s22, s6, 4
	s_lshl_b32 s23, s10, 4
	v_mov_b32_e32 v1, 0
	v_mov_b32_e32 v9, s8
                                        ; implicit-def: $vgpr10
                                        ; implicit-def: $vgpr11
	s_branch .LBB7_3
.LBB7_2:                                ;   in Loop: Header=BB7_3 Depth=1
	s_or_b64 exec, exec, s[0:1]
	s_add_i32 s6, s6, s10
	s_add_i32 s22, s22, s23
	s_cmp_lt_u32 s6, s11
	s_cbranch_scc0 .LBB7_11
.LBB7_3:                                ; =>This Inner Loop Header: Depth=1
	s_mul_hi_u32 s0, s14, s6
	s_add_i32 s0, s6, s0
	s_lshr_b32 s0, s0, s15
	s_mul_hi_u32 s1, s0, s12
	s_add_i32 s1, s0, s1
	s_lshr_b32 s24, s1, s13
	s_mul_i32 s1, s24, s4
	s_sub_i32 s1, s0, s1
	s_lshl_b32 s25, s1, 5
	v_or_b32_e32 v0, s25, v6
	s_mul_i32 s26, s21, s0
	v_mad_u64_u32 v[2:3], s[0:1], s24, v9, v[0:1]
	s_add_i32 s26, s26, s22
	s_waitcnt lgkmcnt(0)
	v_add_u32_e32 v12, s26, v5
	v_mov_b32_e32 v13, v1
	v_mad_u64_u32 v[13:14], s[0:1], v2, s5, v[12:13]
	v_cmp_gt_u32_e32 vcc, s9, v12
	v_mov_b32_e32 v2, v14
	v_mad_u64_u32 v[2:3], s[0:1], v3, s5, v[2:3]
	v_cmp_gt_u32_e64 s[0:1], s8, v0
	s_and_b64 s[0:1], s[0:1], vcc
	v_mov_b32_e32 v14, v2
	v_lshlrev_b64 v[2:3], 1, v[13:14]
	s_waitcnt vmcnt(0)
	s_barrier
	s_and_saveexec_b64 s[2:3], s[0:1]
	s_cbranch_execz .LBB7_5
; %bb.4:                                ;   in Loop: Header=BB7_3 Depth=1
	v_mov_b32_e32 v4, s19
	v_add_co_u32_e64 v11, s[0:1], s18, v2
	v_addc_co_u32_e64 v12, s[0:1], v4, v3, s[0:1]
	global_load_ushort v11, v[11:12], off
.LBB7_5:                                ;   in Loop: Header=BB7_3 Depth=1
	s_or_b64 exec, exec, s[2:3]
	v_add_u32_e32 v0, 16, v0
	v_cmp_gt_u32_e64 s[0:1], s8, v0
	s_and_b64 s[2:3], s[0:1], vcc
	s_and_saveexec_b64 s[0:1], s[2:3]
	s_cbranch_execz .LBB7_7
; %bb.6:                                ;   in Loop: Header=BB7_3 Depth=1
	v_mov_b32_e32 v0, s20
	v_add_co_u32_e32 v2, vcc, s7, v2
	v_addc_co_u32_e32 v3, vcc, v0, v3, vcc
	global_load_ushort v10, v[2:3], off
.LBB7_7:                                ;   in Loop: Header=BB7_3 Depth=1
	s_or_b64 exec, exec, s[0:1]
	v_add_u32_e32 v0, s26, v6
	v_mov_b32_e32 v2, s5
	v_mad_u64_u32 v[12:13], s[0:1], s24, v2, v[0:1]
	v_or_b32_e32 v2, s25, v5
	v_mov_b32_e32 v3, v1
	v_mad_u64_u32 v[3:4], s[0:1], v12, s8, v[2:3]
	s_waitcnt vmcnt(0)
	ds_write_b16 v7, v11
	ds_write_b16 v7, v10 offset:576
	s_waitcnt lgkmcnt(0)
	v_mad_u64_u32 v[12:13], s[0:1], v13, s8, v[4:5]
	s_barrier
	v_mov_b32_e32 v4, v12
	ds_read_u16 v12, v8 offset:576
	v_cmp_gt_u32_e64 s[0:1], s8, v2
	v_cmp_gt_u32_e32 vcc, s9, v0
	v_lshlrev_b64 v[3:4], 1, v[3:4]
	s_and_b64 s[0:1], vcc, s[0:1]
	s_and_saveexec_b64 s[2:3], s[0:1]
	s_cbranch_execz .LBB7_9
; %bb.8:                                ;   in Loop: Header=BB7_3 Depth=1
	ds_read_u16 v15, v8
	v_mov_b32_e32 v0, s17
	v_add_co_u32_e64 v13, s[0:1], s16, v3
	v_addc_co_u32_e64 v14, s[0:1], v0, v4, s[0:1]
	s_waitcnt lgkmcnt(0)
	global_store_short v[13:14], v15, off
.LBB7_9:                                ;   in Loop: Header=BB7_3 Depth=1
	s_or_b64 exec, exec, s[2:3]
	v_or_b32_e32 v0, 16, v2
	v_cmp_gt_u32_e64 s[0:1], s8, v0
	s_and_b64 s[2:3], vcc, s[0:1]
	s_and_saveexec_b64 s[0:1], s[2:3]
	s_cbranch_execz .LBB7_2
; %bb.10:                               ;   in Loop: Header=BB7_3 Depth=1
	v_mov_b32_e32 v0, s17
	v_add_co_u32_e32 v2, vcc, s16, v3
	v_addc_co_u32_e32 v3, vcc, v0, v4, vcc
	s_waitcnt lgkmcnt(0)
	global_store_short v[2:3], v12, off offset:32
	s_branch .LBB7_2
.LBB7_11:
	s_endpgm
	.section	.rodata,"a",@progbits
	.p2align	6, 0x0
	.amdhsa_kernel batched_transpose_16x32_half
		.amdhsa_group_segment_fixed_size 1152
		.amdhsa_private_segment_fixed_size 0
		.amdhsa_kernarg_size 48
		.amdhsa_user_sgpr_count 6
		.amdhsa_user_sgpr_private_segment_buffer 1
		.amdhsa_user_sgpr_dispatch_ptr 0
		.amdhsa_user_sgpr_queue_ptr 0
		.amdhsa_user_sgpr_kernarg_segment_ptr 1
		.amdhsa_user_sgpr_dispatch_id 0
		.amdhsa_user_sgpr_flat_scratch_init 0
		.amdhsa_user_sgpr_private_segment_size 0
		.amdhsa_uses_dynamic_stack 0
		.amdhsa_system_sgpr_private_segment_wavefront_offset 0
		.amdhsa_system_sgpr_workgroup_id_x 1
		.amdhsa_system_sgpr_workgroup_id_y 0
		.amdhsa_system_sgpr_workgroup_id_z 0
		.amdhsa_system_sgpr_workgroup_info 0
		.amdhsa_system_vgpr_workitem_id 0
		.amdhsa_next_free_vgpr 16
		.amdhsa_next_free_sgpr 27
		.amdhsa_reserve_vcc 1
		.amdhsa_reserve_flat_scratch 0
		.amdhsa_float_round_mode_32 0
		.amdhsa_float_round_mode_16_64 0
		.amdhsa_float_denorm_mode_32 3
		.amdhsa_float_denorm_mode_16_64 3
		.amdhsa_dx10_clamp 1
		.amdhsa_ieee_mode 1
		.amdhsa_fp16_overflow 0
		.amdhsa_exception_fp_ieee_invalid_op 0
		.amdhsa_exception_fp_denorm_src 0
		.amdhsa_exception_fp_ieee_div_zero 0
		.amdhsa_exception_fp_ieee_overflow 0
		.amdhsa_exception_fp_ieee_underflow 0
		.amdhsa_exception_fp_ieee_inexact 0
		.amdhsa_exception_int_div_zero 0
	.end_amdhsa_kernel
	.text
.Lfunc_end7:
	.size	batched_transpose_16x32_half, .Lfunc_end7-batched_transpose_16x32_half
                                        ; -- End function
	.set batched_transpose_16x32_half.num_vgpr, 16
	.set batched_transpose_16x32_half.num_agpr, 0
	.set batched_transpose_16x32_half.numbered_sgpr, 27
	.set batched_transpose_16x32_half.num_named_barrier, 0
	.set batched_transpose_16x32_half.private_seg_size, 0
	.set batched_transpose_16x32_half.uses_vcc, 1
	.set batched_transpose_16x32_half.uses_flat_scratch, 0
	.set batched_transpose_16x32_half.has_dyn_sized_stack, 0
	.set batched_transpose_16x32_half.has_recursion, 0
	.set batched_transpose_16x32_half.has_indirect_call, 0
	.section	.AMDGPU.csdata,"",@progbits
; Kernel info:
; codeLenInByte = 572
; TotalNumSgprs: 31
; NumVgprs: 16
; ScratchSize: 0
; MemoryBound: 0
; FloatMode: 240
; IeeeMode: 1
; LDSByteSize: 1152 bytes/workgroup (compile time only)
; SGPRBlocks: 3
; VGPRBlocks: 3
; NumSGPRsForWavesPerEU: 31
; NumVGPRsForWavesPerEU: 16
; Occupancy: 10
; WaveLimiterHint : 0
; COMPUTE_PGM_RSRC2:SCRATCH_EN: 0
; COMPUTE_PGM_RSRC2:USER_SGPR: 6
; COMPUTE_PGM_RSRC2:TRAP_HANDLER: 0
; COMPUTE_PGM_RSRC2:TGID_X_EN: 1
; COMPUTE_PGM_RSRC2:TGID_Y_EN: 0
; COMPUTE_PGM_RSRC2:TGID_Z_EN: 0
; COMPUTE_PGM_RSRC2:TIDIG_COMP_CNT: 0
	.text
	.protected	batched_transpose_16x32_byte ; -- Begin function batched_transpose_16x32_byte
	.globl	batched_transpose_16x32_byte
	.p2align	8
	.type	batched_transpose_16x32_byte,@function
batched_transpose_16x32_byte:           ; @batched_transpose_16x32_byte
; %bb.0:
	s_load_dwordx8 s[8:15], s[4:5], 0x10
	s_waitcnt lgkmcnt(0)
	s_cmp_ge_u32 s6, s11
	s_cbranch_scc1 .LBB8_11
; %bb.1:
	s_load_dwordx4 s[16:19], s[4:5], 0x0
	s_add_i32 s0, s8, 31
	s_lshr_b32 s4, s0, 5
	s_add_i32 s0, s9, 15
	s_lshl_b32 s1, s9, 4
	v_and_b32_e32 v7, 15, v0
	v_lshrrev_b32_e32 v8, 4, v0
	s_waitcnt lgkmcnt(0)
	s_add_u32 s7, s18, s1
	s_addc_u32 s20, s19, 0
	v_mul_u32_u24_e32 v0, 20, v8
	v_mul_u32_u24_e32 v2, 20, v7
	s_and_b32 s0, s0, -16
	s_mov_b32 s5, s9
	s_sub_i32 s21, 0, s0
	s_lshl_b32 s22, s6, 4
	s_lshl_b32 s23, s10, 4
	v_mov_b32_e32 v1, 0
	v_mov_b32_e32 v9, s8
	v_add_u32_e32 v10, v0, v7
	v_mov_b32_e32 v11, s9
	v_add_u32_e32 v12, v2, v8
                                        ; implicit-def: $vgpr13
                                        ; implicit-def: $vgpr14
	s_branch .LBB8_3
.LBB8_2:                                ;   in Loop: Header=BB8_3 Depth=1
	s_or_b64 exec, exec, s[0:1]
	s_add_i32 s6, s6, s10
	s_add_i32 s22, s22, s23
	s_cmp_lt_u32 s6, s11
	s_cbranch_scc0 .LBB8_11
.LBB8_3:                                ; =>This Inner Loop Header: Depth=1
	s_mul_hi_u32 s0, s14, s6
	s_add_i32 s0, s6, s0
	s_lshr_b32 s0, s0, s15
	s_mul_hi_u32 s1, s0, s12
	s_add_i32 s1, s0, s1
	s_lshr_b32 s24, s1, s13
	s_mul_i32 s1, s24, s4
	s_sub_i32 s1, s0, s1
	s_lshl_b32 s25, s1, 5
	v_or_b32_e32 v0, s25, v8
	s_mul_i32 s26, s21, s0
	v_mad_u64_u32 v[3:4], s[0:1], s24, v9, v[0:1]
	s_add_i32 s26, s26, s22
	v_add_u32_e32 v5, s26, v7
	s_waitcnt lgkmcnt(0)
	v_mov_b32_e32 v6, v1
	v_mad_u64_u32 v[2:3], s[0:1], v3, s5, v[5:6]
	v_cmp_gt_u32_e32 vcc, s9, v5
	v_mad_u64_u32 v[3:4], s[0:1], v4, s5, v[3:4]
	v_cmp_gt_u32_e64 s[0:1], s8, v0
	s_and_b64 s[0:1], s[0:1], vcc
	s_waitcnt vmcnt(0)
	s_barrier
	s_and_saveexec_b64 s[2:3], s[0:1]
	s_cbranch_execz .LBB8_5
; %bb.4:                                ;   in Loop: Header=BB8_3 Depth=1
	v_mov_b32_e32 v5, s19
	v_add_co_u32_e64 v4, s[0:1], s18, v2
	v_addc_co_u32_e64 v5, s[0:1], v5, v3, s[0:1]
	global_load_ubyte v14, v[4:5], off
.LBB8_5:                                ;   in Loop: Header=BB8_3 Depth=1
	s_or_b64 exec, exec, s[2:3]
	v_add_u32_e32 v0, 16, v0
	v_cmp_gt_u32_e64 s[0:1], s8, v0
	s_and_b64 s[2:3], s[0:1], vcc
	s_and_saveexec_b64 s[0:1], s[2:3]
	s_cbranch_execz .LBB8_7
; %bb.6:                                ;   in Loop: Header=BB8_3 Depth=1
	v_mov_b32_e32 v0, s20
	v_add_co_u32_e32 v2, vcc, s7, v2
	v_addc_co_u32_e32 v3, vcc, v0, v3, vcc
	global_load_ubyte v13, v[2:3], off
.LBB8_7:                                ;   in Loop: Header=BB8_3 Depth=1
	s_or_b64 exec, exec, s[0:1]
	v_add_u32_e32 v0, s26, v8
	v_mad_u64_u32 v[3:4], s[0:1], s24, v11, v[0:1]
	v_or_b32_e32 v5, s25, v7
	v_mov_b32_e32 v6, v1
	v_mad_u64_u32 v[2:3], s[0:1], v3, s8, v[5:6]
	s_waitcnt vmcnt(0)
	ds_write_b8 v10, v14
	ds_write_b8 v10, v13 offset:320
	s_waitcnt lgkmcnt(0)
	s_barrier
	ds_read_u8 v6, v12 offset:320
	v_mad_u64_u32 v[3:4], s[0:1], v4, s8, v[3:4]
	v_cmp_gt_u32_e64 s[0:1], s8, v5
	v_cmp_gt_u32_e32 vcc, s9, v0
	s_and_b64 s[0:1], vcc, s[0:1]
	s_and_saveexec_b64 s[2:3], s[0:1]
	s_cbranch_execz .LBB8_9
; %bb.8:                                ;   in Loop: Header=BB8_3 Depth=1
	ds_read_u8 v4, v12
	v_mov_b32_e32 v0, s17
	v_add_co_u32_e64 v15, s[0:1], s16, v2
	v_addc_co_u32_e64 v16, s[0:1], v0, v3, s[0:1]
	s_waitcnt lgkmcnt(0)
	global_store_byte v[15:16], v4, off
.LBB8_9:                                ;   in Loop: Header=BB8_3 Depth=1
	s_or_b64 exec, exec, s[2:3]
	v_or_b32_e32 v0, 16, v5
	v_cmp_gt_u32_e64 s[0:1], s8, v0
	s_and_b64 s[2:3], vcc, s[0:1]
	s_and_saveexec_b64 s[0:1], s[2:3]
	s_cbranch_execz .LBB8_2
; %bb.10:                               ;   in Loop: Header=BB8_3 Depth=1
	v_mov_b32_e32 v0, s17
	v_add_co_u32_e32 v2, vcc, s16, v2
	v_addc_co_u32_e32 v3, vcc, v0, v3, vcc
	s_waitcnt lgkmcnt(0)
	global_store_byte v[2:3], v6, off offset:16
	s_branch .LBB8_2
.LBB8_11:
	s_endpgm
	.section	.rodata,"a",@progbits
	.p2align	6, 0x0
	.amdhsa_kernel batched_transpose_16x32_byte
		.amdhsa_group_segment_fixed_size 640
		.amdhsa_private_segment_fixed_size 0
		.amdhsa_kernarg_size 48
		.amdhsa_user_sgpr_count 6
		.amdhsa_user_sgpr_private_segment_buffer 1
		.amdhsa_user_sgpr_dispatch_ptr 0
		.amdhsa_user_sgpr_queue_ptr 0
		.amdhsa_user_sgpr_kernarg_segment_ptr 1
		.amdhsa_user_sgpr_dispatch_id 0
		.amdhsa_user_sgpr_flat_scratch_init 0
		.amdhsa_user_sgpr_private_segment_size 0
		.amdhsa_uses_dynamic_stack 0
		.amdhsa_system_sgpr_private_segment_wavefront_offset 0
		.amdhsa_system_sgpr_workgroup_id_x 1
		.amdhsa_system_sgpr_workgroup_id_y 0
		.amdhsa_system_sgpr_workgroup_id_z 0
		.amdhsa_system_sgpr_workgroup_info 0
		.amdhsa_system_vgpr_workitem_id 0
		.amdhsa_next_free_vgpr 17
		.amdhsa_next_free_sgpr 27
		.amdhsa_reserve_vcc 1
		.amdhsa_reserve_flat_scratch 0
		.amdhsa_float_round_mode_32 0
		.amdhsa_float_round_mode_16_64 0
		.amdhsa_float_denorm_mode_32 3
		.amdhsa_float_denorm_mode_16_64 3
		.amdhsa_dx10_clamp 1
		.amdhsa_ieee_mode 1
		.amdhsa_fp16_overflow 0
		.amdhsa_exception_fp_ieee_invalid_op 0
		.amdhsa_exception_fp_denorm_src 0
		.amdhsa_exception_fp_ieee_div_zero 0
		.amdhsa_exception_fp_ieee_overflow 0
		.amdhsa_exception_fp_ieee_underflow 0
		.amdhsa_exception_fp_ieee_inexact 0
		.amdhsa_exception_int_div_zero 0
	.end_amdhsa_kernel
	.text
.Lfunc_end8:
	.size	batched_transpose_16x32_byte, .Lfunc_end8-batched_transpose_16x32_byte
                                        ; -- End function
	.set batched_transpose_16x32_byte.num_vgpr, 17
	.set batched_transpose_16x32_byte.num_agpr, 0
	.set batched_transpose_16x32_byte.numbered_sgpr, 27
	.set batched_transpose_16x32_byte.num_named_barrier, 0
	.set batched_transpose_16x32_byte.private_seg_size, 0
	.set batched_transpose_16x32_byte.uses_vcc, 1
	.set batched_transpose_16x32_byte.uses_flat_scratch, 0
	.set batched_transpose_16x32_byte.has_dyn_sized_stack, 0
	.set batched_transpose_16x32_byte.has_recursion, 0
	.set batched_transpose_16x32_byte.has_indirect_call, 0
	.section	.AMDGPU.csdata,"",@progbits
; Kernel info:
; codeLenInByte = 528
; TotalNumSgprs: 31
; NumVgprs: 17
; ScratchSize: 0
; MemoryBound: 0
; FloatMode: 240
; IeeeMode: 1
; LDSByteSize: 640 bytes/workgroup (compile time only)
; SGPRBlocks: 3
; VGPRBlocks: 4
; NumSGPRsForWavesPerEU: 31
; NumVGPRsForWavesPerEU: 17
; Occupancy: 10
; WaveLimiterHint : 0
; COMPUTE_PGM_RSRC2:SCRATCH_EN: 0
; COMPUTE_PGM_RSRC2:USER_SGPR: 6
; COMPUTE_PGM_RSRC2:TRAP_HANDLER: 0
; COMPUTE_PGM_RSRC2:TGID_X_EN: 1
; COMPUTE_PGM_RSRC2:TGID_Y_EN: 0
; COMPUTE_PGM_RSRC2:TGID_Z_EN: 0
; COMPUTE_PGM_RSRC2:TIDIG_COMP_CNT: 0
	.text
	.protected	batched_transpose_32x32_dword ; -- Begin function batched_transpose_32x32_dword
	.globl	batched_transpose_32x32_dword
	.p2align	8
	.type	batched_transpose_32x32_dword,@function
batched_transpose_32x32_dword:          ; @batched_transpose_32x32_dword
; %bb.0:
	s_load_dwordx8 s[8:15], s[4:5], 0x10
	s_waitcnt lgkmcnt(0)
	s_cmp_ge_u32 s6, s11
	s_cbranch_scc1 .LBB9_19
; %bb.1:
	s_load_dwordx4 s[16:19], s[4:5], 0x0
	s_add_i32 s0, s8, 31
	s_lshr_b32 s7, s0, 5
	s_mov_b32 s1, 0
	s_lshl_b32 s0, s9, 4
	s_add_i32 s4, s9, 31
	v_and_b32_e32 v12, 15, v0
	s_lshl_b64 s[2:3], s[0:1], 2
	v_lshrrev_b32_e32 v13, 4, v0
	s_waitcnt lgkmcnt(0)
	s_add_u32 s21, s18, s2
	v_lshlrev_b32_e32 v1, 4, v12
	s_movk_i32 s0, 0x110
	v_and_b32_e32 v0, 0xf0, v0
	s_addc_u32 s22, s19, s3
	v_mad_u32_u24 v14, v13, s0, v1
	v_mad_u32_u24 v15, v12, s0, v0
	s_lshl_b32 s0, s8, 4
	s_lshl_b64 s[0:1], s[0:1], 2
	s_add_u32 s23, s16, s0
	s_addc_u32 s24, s17, s1
	s_andn2_b32 s4, s4, 31
	s_mov_b32 s20, s9
	s_sub_i32 s25, 0, s4
	s_lshl_b32 s26, s6, 5
	s_lshl_b32 s27, s10, 5
	v_mov_b32_e32 v5, 0
	v_mov_b32_e32 v16, s8
	;; [unrolled: 1-line block ×3, first 2 shown]
                                        ; implicit-def: $vgpr3
	s_branch .LBB9_3
.LBB9_2:                                ;   in Loop: Header=BB9_3 Depth=1
	s_or_b64 exec, exec, s[0:1]
	s_add_i32 s6, s6, s10
	s_add_i32 s26, s26, s27
	s_cmp_lt_u32 s6, s11
	s_cbranch_scc0 .LBB9_19
.LBB9_3:                                ; =>This Inner Loop Header: Depth=1
	s_mul_hi_u32 s0, s14, s6
	s_add_i32 s0, s6, s0
	s_lshr_b32 s0, s0, s15
	s_mul_hi_u32 s1, s0, s12
	s_add_i32 s1, s0, s1
	s_lshr_b32 s28, s1, s13
	s_mul_i32 s1, s28, s7
	s_sub_i32 s1, s0, s1
	s_lshl_b32 s29, s1, 5
	v_or_b32_e32 v4, s29, v13
	s_mul_i32 s30, s25, s0
	v_mad_u64_u32 v[6:7], s[0:1], s28, v16, v[4:5]
	s_add_i32 s30, s30, s26
	s_waitcnt lgkmcnt(1)
	v_add_u32_e32 v8, s30, v12
	v_mov_b32_e32 v9, v5
	v_mad_u64_u32 v[9:10], s[0:1], v6, s20, v[8:9]
	v_cmp_gt_u32_e64 s[2:3], s8, v4
	v_cmp_gt_u32_e32 vcc, s9, v8
	v_mov_b32_e32 v6, v10
	v_mad_u64_u32 v[6:7], s[0:1], v7, s20, v[6:7]
	s_and_b64 s[0:1], s[2:3], vcc
	v_mov_b32_e32 v10, v6
	v_lshlrev_b64 v[6:7], 2, v[9:10]
	s_waitcnt vmcnt(0) lgkmcnt(0)
	s_barrier
	s_and_saveexec_b64 s[4:5], s[0:1]
	s_cbranch_execz .LBB9_5
; %bb.4:                                ;   in Loop: Header=BB9_3 Depth=1
	v_mov_b32_e32 v0, s19
	v_add_co_u32_e64 v9, s[0:1], s18, v6
	v_addc_co_u32_e64 v10, s[0:1], v0, v7, s[0:1]
	global_load_dword v0, v[9:10], off
.LBB9_5:                                ;   in Loop: Header=BB9_3 Depth=1
	s_or_b64 exec, exec, s[4:5]
	v_add_u32_e32 v8, 16, v8
	v_cmp_gt_u32_e64 s[0:1], s9, v8
	s_and_b64 s[2:3], s[2:3], s[0:1]
	s_and_saveexec_b64 s[4:5], s[2:3]
	s_cbranch_execz .LBB9_7
; %bb.6:                                ;   in Loop: Header=BB9_3 Depth=1
	v_mov_b32_e32 v2, s19
	v_add_co_u32_e64 v8, s[2:3], s18, v6
	v_addc_co_u32_e64 v9, s[2:3], v2, v7, s[2:3]
	global_load_dword v2, v[8:9], off offset:64
.LBB9_7:                                ;   in Loop: Header=BB9_3 Depth=1
	s_or_b64 exec, exec, s[4:5]
	v_add_u32_e32 v4, 16, v4
	v_cmp_gt_u32_e64 s[2:3], s8, v4
	s_and_b64 s[34:35], s[2:3], vcc
	s_and_saveexec_b64 s[4:5], s[34:35]
	s_cbranch_execz .LBB9_9
; %bb.8:                                ;   in Loop: Header=BB9_3 Depth=1
	v_mov_b32_e32 v1, s22
	v_add_co_u32_e32 v8, vcc, s21, v6
	v_addc_co_u32_e32 v9, vcc, v1, v7, vcc
	global_load_dword v1, v[8:9], off
.LBB9_9:                                ;   in Loop: Header=BB9_3 Depth=1
	s_or_b64 exec, exec, s[4:5]
	s_and_b64 s[2:3], s[2:3], s[0:1]
	s_and_saveexec_b64 s[0:1], s[2:3]
	s_cbranch_execz .LBB9_11
; %bb.10:                               ;   in Loop: Header=BB9_3 Depth=1
	v_mov_b32_e32 v4, s22
	v_add_co_u32_e32 v3, vcc, s21, v6
	v_addc_co_u32_e32 v4, vcc, v4, v7, vcc
	global_load_dword v3, v[3:4], off offset:64
.LBB9_11:                               ;   in Loop: Header=BB9_3 Depth=1
	s_or_b64 exec, exec, s[0:1]
	v_add_u32_e32 v4, s30, v13
	v_mad_u64_u32 v[6:7], s[0:1], s28, v17, v[4:5]
	v_or_b32_e32 v10, s29, v12
	v_mov_b32_e32 v11, v5
	v_mad_u64_u32 v[18:19], s[0:1], v6, s8, v[10:11]
	s_waitcnt vmcnt(0)
	ds_write_b128 v14, v[0:3]
	s_waitcnt lgkmcnt(0)
	v_mov_b32_e32 v6, v19
	v_mad_u64_u32 v[6:7], s[0:1], v7, s8, v[6:7]
	s_barrier
	ds_read2_b32 v[8:9], v15 offset0:1 offset1:2
	ds_read_b32 v11, v15 offset:12
	v_mov_b32_e32 v19, v6
	v_cmp_gt_u32_e32 vcc, s8, v10
	v_cmp_gt_u32_e64 s[2:3], s9, v4
	v_lshlrev_b64 v[6:7], 2, v[18:19]
	s_and_b64 s[0:1], s[2:3], vcc
	s_and_saveexec_b64 s[4:5], s[0:1]
	s_cbranch_execz .LBB9_13
; %bb.12:                               ;   in Loop: Header=BB9_3 Depth=1
	ds_read_b32 v20, v15
	v_mov_b32_e32 v19, s17
	v_add_co_u32_e64 v18, s[0:1], s16, v6
	v_addc_co_u32_e64 v19, s[0:1], v19, v7, s[0:1]
	s_waitcnt lgkmcnt(0)
	global_store_dword v[18:19], v20, off
.LBB9_13:                               ;   in Loop: Header=BB9_3 Depth=1
	s_or_b64 exec, exec, s[4:5]
	v_or_b32_e32 v10, 16, v10
	v_cmp_gt_u32_e64 s[0:1], s8, v10
	s_and_b64 s[2:3], s[2:3], s[0:1]
	s_and_saveexec_b64 s[4:5], s[2:3]
	s_cbranch_execz .LBB9_15
; %bb.14:                               ;   in Loop: Header=BB9_3 Depth=1
	v_mov_b32_e32 v10, s17
	v_add_co_u32_e64 v18, s[2:3], s16, v6
	v_addc_co_u32_e64 v19, s[2:3], v10, v7, s[2:3]
	s_waitcnt lgkmcnt(1)
	global_store_dword v[18:19], v8, off offset:64
.LBB9_15:                               ;   in Loop: Header=BB9_3 Depth=1
	s_or_b64 exec, exec, s[4:5]
	v_add_u32_e32 v4, 16, v4
	v_cmp_gt_u32_e64 s[2:3], s9, v4
	s_and_b64 s[28:29], s[2:3], vcc
	s_and_saveexec_b64 s[4:5], s[28:29]
	s_cbranch_execz .LBB9_17
; %bb.16:                               ;   in Loop: Header=BB9_3 Depth=1
	v_mov_b32_e32 v4, s24
	v_add_co_u32_e32 v18, vcc, s23, v6
	v_addc_co_u32_e32 v19, vcc, v4, v7, vcc
	s_waitcnt lgkmcnt(1)
	global_store_dword v[18:19], v9, off
.LBB9_17:                               ;   in Loop: Header=BB9_3 Depth=1
	s_or_b64 exec, exec, s[4:5]
	s_and_b64 s[2:3], s[2:3], s[0:1]
	s_and_saveexec_b64 s[0:1], s[2:3]
	s_cbranch_execz .LBB9_2
; %bb.18:                               ;   in Loop: Header=BB9_3 Depth=1
	v_mov_b32_e32 v4, s24
	v_add_co_u32_e32 v6, vcc, s23, v6
	v_addc_co_u32_e32 v7, vcc, v4, v7, vcc
	s_waitcnt lgkmcnt(0)
	global_store_dword v[6:7], v11, off offset:64
	s_branch .LBB9_2
.LBB9_19:
	s_endpgm
	.section	.rodata,"a",@progbits
	.p2align	6, 0x0
	.amdhsa_kernel batched_transpose_32x32_dword
		.amdhsa_group_segment_fixed_size 4352
		.amdhsa_private_segment_fixed_size 0
		.amdhsa_kernarg_size 48
		.amdhsa_user_sgpr_count 6
		.amdhsa_user_sgpr_private_segment_buffer 1
		.amdhsa_user_sgpr_dispatch_ptr 0
		.amdhsa_user_sgpr_queue_ptr 0
		.amdhsa_user_sgpr_kernarg_segment_ptr 1
		.amdhsa_user_sgpr_dispatch_id 0
		.amdhsa_user_sgpr_flat_scratch_init 0
		.amdhsa_user_sgpr_private_segment_size 0
		.amdhsa_uses_dynamic_stack 0
		.amdhsa_system_sgpr_private_segment_wavefront_offset 0
		.amdhsa_system_sgpr_workgroup_id_x 1
		.amdhsa_system_sgpr_workgroup_id_y 0
		.amdhsa_system_sgpr_workgroup_id_z 0
		.amdhsa_system_sgpr_workgroup_info 0
		.amdhsa_system_vgpr_workitem_id 0
		.amdhsa_next_free_vgpr 21
		.amdhsa_next_free_sgpr 36
		.amdhsa_reserve_vcc 1
		.amdhsa_reserve_flat_scratch 0
		.amdhsa_float_round_mode_32 0
		.amdhsa_float_round_mode_16_64 0
		.amdhsa_float_denorm_mode_32 3
		.amdhsa_float_denorm_mode_16_64 3
		.amdhsa_dx10_clamp 1
		.amdhsa_ieee_mode 1
		.amdhsa_fp16_overflow 0
		.amdhsa_exception_fp_ieee_invalid_op 0
		.amdhsa_exception_fp_denorm_src 0
		.amdhsa_exception_fp_ieee_div_zero 0
		.amdhsa_exception_fp_ieee_overflow 0
		.amdhsa_exception_fp_ieee_underflow 0
		.amdhsa_exception_fp_ieee_inexact 0
		.amdhsa_exception_int_div_zero 0
	.end_amdhsa_kernel
	.text
.Lfunc_end9:
	.size	batched_transpose_32x32_dword, .Lfunc_end9-batched_transpose_32x32_dword
                                        ; -- End function
	.set batched_transpose_32x32_dword.num_vgpr, 21
	.set batched_transpose_32x32_dword.num_agpr, 0
	.set batched_transpose_32x32_dword.numbered_sgpr, 36
	.set batched_transpose_32x32_dword.num_named_barrier, 0
	.set batched_transpose_32x32_dword.private_seg_size, 0
	.set batched_transpose_32x32_dword.uses_vcc, 1
	.set batched_transpose_32x32_dword.uses_flat_scratch, 0
	.set batched_transpose_32x32_dword.has_dyn_sized_stack, 0
	.set batched_transpose_32x32_dword.has_recursion, 0
	.set batched_transpose_32x32_dword.has_indirect_call, 0
	.section	.AMDGPU.csdata,"",@progbits
; Kernel info:
; codeLenInByte = 792
; TotalNumSgprs: 40
; NumVgprs: 21
; ScratchSize: 0
; MemoryBound: 0
; FloatMode: 240
; IeeeMode: 1
; LDSByteSize: 4352 bytes/workgroup (compile time only)
; SGPRBlocks: 4
; VGPRBlocks: 5
; NumSGPRsForWavesPerEU: 40
; NumVGPRsForWavesPerEU: 21
; Occupancy: 10
; WaveLimiterHint : 0
; COMPUTE_PGM_RSRC2:SCRATCH_EN: 0
; COMPUTE_PGM_RSRC2:USER_SGPR: 6
; COMPUTE_PGM_RSRC2:TRAP_HANDLER: 0
; COMPUTE_PGM_RSRC2:TGID_X_EN: 1
; COMPUTE_PGM_RSRC2:TGID_Y_EN: 0
; COMPUTE_PGM_RSRC2:TGID_Z_EN: 0
; COMPUTE_PGM_RSRC2:TIDIG_COMP_CNT: 0
	.text
	.protected	batched_transpose_32x32_half ; -- Begin function batched_transpose_32x32_half
	.globl	batched_transpose_32x32_half
	.p2align	8
	.type	batched_transpose_32x32_half,@function
batched_transpose_32x32_half:           ; @batched_transpose_32x32_half
; %bb.0:
	s_load_dwordx8 s[8:15], s[4:5], 0x10
	s_waitcnt lgkmcnt(0)
	s_cmp_ge_u32 s6, s11
	s_cbranch_scc1 .LBB10_19
; %bb.1:
	s_load_dwordx4 s[16:19], s[4:5], 0x0
	s_add_i32 s0, s8, 31
	s_lshr_b32 s7, s0, 5
	s_mov_b32 s1, 0
	v_and_b32_e32 v6, 15, v0
	s_lshl_b32 s0, s9, 4
	s_add_i32 s4, s9, 31
	v_lshrrev_b32_e32 v7, 4, v0
	s_lshl_b64 s[2:3], s[0:1], 1
	v_lshlrev_b32_e32 v0, 3, v6
	s_movk_i32 s0, 0x88
	s_waitcnt lgkmcnt(0)
	s_add_u32 s21, s18, s2
	v_mad_u32_u24 v8, v7, s0, v0
	v_lshlrev_b32_e32 v0, 3, v7
	s_addc_u32 s22, s19, s3
	v_mad_u32_u24 v9, v6, s0, v0
	s_lshl_b32 s0, s8, 4
	s_lshl_b64 s[0:1], s[0:1], 1
	s_add_u32 s23, s16, s0
	s_addc_u32 s24, s17, s1
	s_andn2_b32 s4, s4, 31
	s_mov_b32 s20, s9
	s_sub_i32 s25, 0, s4
	s_lshl_b32 s26, s6, 5
	s_lshl_b32 s27, s10, 5
	v_mov_b32_e32 v1, 0
	v_mov_b32_e32 v10, s8
	s_mov_b32 s28, 0x5040100
	v_mov_b32_e32 v11, s9
                                        ; implicit-def: $vgpr12
                                        ; implicit-def: $vgpr13
                                        ; implicit-def: $vgpr14
                                        ; implicit-def: $vgpr15
	s_branch .LBB10_3
.LBB10_2:                               ;   in Loop: Header=BB10_3 Depth=1
	s_or_b64 exec, exec, s[0:1]
	s_add_i32 s6, s6, s10
	s_add_i32 s26, s26, s27
	s_cmp_lt_u32 s6, s11
	s_cbranch_scc0 .LBB10_19
.LBB10_3:                               ; =>This Inner Loop Header: Depth=1
	s_mul_hi_u32 s0, s14, s6
	s_add_i32 s0, s6, s0
	s_lshr_b32 s0, s0, s15
	s_mul_hi_u32 s1, s0, s12
	s_add_i32 s1, s0, s1
	s_lshr_b32 s29, s1, s13
	s_mul_i32 s1, s29, s7
	s_sub_i32 s1, s0, s1
	s_lshl_b32 s30, s1, 5
	v_or_b32_e32 v0, s30, v7
	s_mul_i32 s31, s25, s0
	v_mad_u64_u32 v[2:3], s[0:1], s29, v10, v[0:1]
	s_add_i32 s31, s31, s26
	v_add_u32_e32 v4, s31, v6
	s_waitcnt lgkmcnt(0)
	v_mov_b32_e32 v5, v1
	v_mad_u64_u32 v[16:17], s[0:1], v2, s20, v[4:5]
	v_cmp_gt_u32_e64 s[2:3], s8, v0
	v_cmp_gt_u32_e32 vcc, s9, v4
	v_mov_b32_e32 v2, v17
	v_mad_u64_u32 v[2:3], s[0:1], v3, s20, v[2:3]
	s_and_b64 s[0:1], s[2:3], vcc
	v_mov_b32_e32 v17, v2
	v_lshlrev_b64 v[2:3], 1, v[16:17]
	s_waitcnt vmcnt(0)
	s_barrier
	s_and_saveexec_b64 s[4:5], s[0:1]
	s_cbranch_execz .LBB10_5
; %bb.4:                                ;   in Loop: Header=BB10_3 Depth=1
	v_mov_b32_e32 v5, s19
	v_add_co_u32_e64 v15, s[0:1], s18, v2
	v_addc_co_u32_e64 v16, s[0:1], v5, v3, s[0:1]
	global_load_ushort v15, v[15:16], off
.LBB10_5:                               ;   in Loop: Header=BB10_3 Depth=1
	s_or_b64 exec, exec, s[4:5]
	v_add_u32_e32 v4, 16, v4
	v_cmp_gt_u32_e64 s[0:1], s9, v4
	s_and_b64 s[2:3], s[2:3], s[0:1]
	s_and_saveexec_b64 s[4:5], s[2:3]
	s_cbranch_execz .LBB10_7
; %bb.6:                                ;   in Loop: Header=BB10_3 Depth=1
	v_mov_b32_e32 v5, s19
	v_add_co_u32_e64 v4, s[2:3], s18, v2
	v_addc_co_u32_e64 v5, s[2:3], v5, v3, s[2:3]
	global_load_ushort v13, v[4:5], off offset:32
.LBB10_7:                               ;   in Loop: Header=BB10_3 Depth=1
	s_or_b64 exec, exec, s[4:5]
	v_add_u32_e32 v0, 16, v0
	v_cmp_gt_u32_e64 s[2:3], s8, v0
	s_and_b64 s[34:35], s[2:3], vcc
	s_and_saveexec_b64 s[4:5], s[34:35]
	s_cbranch_execz .LBB10_9
; %bb.8:                                ;   in Loop: Header=BB10_3 Depth=1
	v_mov_b32_e32 v0, s22
	v_add_co_u32_e32 v4, vcc, s21, v2
	v_addc_co_u32_e32 v5, vcc, v0, v3, vcc
	global_load_ushort v14, v[4:5], off
.LBB10_9:                               ;   in Loop: Header=BB10_3 Depth=1
	s_or_b64 exec, exec, s[4:5]
	s_and_b64 s[2:3], s[2:3], s[0:1]
	s_and_saveexec_b64 s[0:1], s[2:3]
	s_cbranch_execz .LBB10_11
; %bb.10:                               ;   in Loop: Header=BB10_3 Depth=1
	v_mov_b32_e32 v0, s22
	v_add_co_u32_e32 v2, vcc, s21, v2
	v_addc_co_u32_e32 v3, vcc, v0, v3, vcc
	global_load_ushort v12, v[2:3], off offset:32
.LBB10_11:                              ;   in Loop: Header=BB10_3 Depth=1
	s_or_b64 exec, exec, s[0:1]
	v_add_u32_e32 v0, s31, v7
	v_mad_u64_u32 v[2:3], s[0:1], s29, v11, v[0:1]
	v_or_b32_e32 v4, s30, v6
	v_mov_b32_e32 v5, v1
	v_mad_u64_u32 v[17:18], s[0:1], v2, s8, v[4:5]
	s_waitcnt vmcnt(0)
	v_perm_b32 v20, v12, v13, s28
	v_perm_b32 v19, v14, v15, s28
	v_mov_b32_e32 v2, v18
	v_mad_u64_u32 v[2:3], s[0:1], v3, s8, v[2:3]
	ds_write_b64 v8, v[19:20]
	s_waitcnt lgkmcnt(0)
	s_barrier
	ds_read_u16 v16, v9 offset:2
	ds_read_b32 v5, v9 offset:4
	v_mov_b32_e32 v18, v2
	v_cmp_gt_u32_e32 vcc, s8, v4
	v_cmp_gt_u32_e64 s[2:3], s9, v0
	v_lshlrev_b64 v[2:3], 1, v[17:18]
	s_and_b64 s[0:1], s[2:3], vcc
	s_and_saveexec_b64 s[4:5], s[0:1]
	s_cbranch_execz .LBB10_13
; %bb.12:                               ;   in Loop: Header=BB10_3 Depth=1
	ds_read_u16 v19, v9
	v_mov_b32_e32 v18, s17
	v_add_co_u32_e64 v17, s[0:1], s16, v2
	v_addc_co_u32_e64 v18, s[0:1], v18, v3, s[0:1]
	s_waitcnt lgkmcnt(0)
	global_store_short v[17:18], v19, off
.LBB10_13:                              ;   in Loop: Header=BB10_3 Depth=1
	s_or_b64 exec, exec, s[4:5]
	v_or_b32_e32 v4, 16, v4
	v_cmp_gt_u32_e64 s[0:1], s8, v4
	s_and_b64 s[2:3], s[2:3], s[0:1]
	s_and_saveexec_b64 s[4:5], s[2:3]
	s_cbranch_execz .LBB10_15
; %bb.14:                               ;   in Loop: Header=BB10_3 Depth=1
	v_mov_b32_e32 v4, s17
	v_add_co_u32_e64 v17, s[2:3], s16, v2
	v_addc_co_u32_e64 v18, s[2:3], v4, v3, s[2:3]
	s_waitcnt lgkmcnt(1)
	global_store_short v[17:18], v16, off offset:32
.LBB10_15:                              ;   in Loop: Header=BB10_3 Depth=1
	s_or_b64 exec, exec, s[4:5]
	v_add_u32_e32 v0, 16, v0
	v_cmp_gt_u32_e64 s[2:3], s9, v0
	s_and_b64 s[30:31], s[2:3], vcc
	s_and_saveexec_b64 s[4:5], s[30:31]
	s_cbranch_execz .LBB10_17
; %bb.16:                               ;   in Loop: Header=BB10_3 Depth=1
	v_mov_b32_e32 v0, s24
	s_waitcnt lgkmcnt(1)
	v_add_co_u32_e32 v16, vcc, s23, v2
	v_addc_co_u32_e32 v17, vcc, v0, v3, vcc
	s_waitcnt lgkmcnt(0)
	global_store_short v[16:17], v5, off
.LBB10_17:                              ;   in Loop: Header=BB10_3 Depth=1
	s_or_b64 exec, exec, s[4:5]
	s_and_b64 s[2:3], s[2:3], s[0:1]
	s_and_saveexec_b64 s[0:1], s[2:3]
	s_cbranch_execz .LBB10_2
; %bb.18:                               ;   in Loop: Header=BB10_3 Depth=1
	v_mov_b32_e32 v0, s24
	v_add_co_u32_e32 v2, vcc, s23, v2
	v_addc_co_u32_e32 v3, vcc, v0, v3, vcc
	s_waitcnt lgkmcnt(0)
	global_store_short_d16_hi v[2:3], v5, off offset:32
	s_branch .LBB10_2
.LBB10_19:
	s_endpgm
	.section	.rodata,"a",@progbits
	.p2align	6, 0x0
	.amdhsa_kernel batched_transpose_32x32_half
		.amdhsa_group_segment_fixed_size 2176
		.amdhsa_private_segment_fixed_size 0
		.amdhsa_kernarg_size 48
		.amdhsa_user_sgpr_count 6
		.amdhsa_user_sgpr_private_segment_buffer 1
		.amdhsa_user_sgpr_dispatch_ptr 0
		.amdhsa_user_sgpr_queue_ptr 0
		.amdhsa_user_sgpr_kernarg_segment_ptr 1
		.amdhsa_user_sgpr_dispatch_id 0
		.amdhsa_user_sgpr_flat_scratch_init 0
		.amdhsa_user_sgpr_private_segment_size 0
		.amdhsa_uses_dynamic_stack 0
		.amdhsa_system_sgpr_private_segment_wavefront_offset 0
		.amdhsa_system_sgpr_workgroup_id_x 1
		.amdhsa_system_sgpr_workgroup_id_y 0
		.amdhsa_system_sgpr_workgroup_id_z 0
		.amdhsa_system_sgpr_workgroup_info 0
		.amdhsa_system_vgpr_workitem_id 0
		.amdhsa_next_free_vgpr 21
		.amdhsa_next_free_sgpr 36
		.amdhsa_reserve_vcc 1
		.amdhsa_reserve_flat_scratch 0
		.amdhsa_float_round_mode_32 0
		.amdhsa_float_round_mode_16_64 0
		.amdhsa_float_denorm_mode_32 3
		.amdhsa_float_denorm_mode_16_64 3
		.amdhsa_dx10_clamp 1
		.amdhsa_ieee_mode 1
		.amdhsa_fp16_overflow 0
		.amdhsa_exception_fp_ieee_invalid_op 0
		.amdhsa_exception_fp_denorm_src 0
		.amdhsa_exception_fp_ieee_div_zero 0
		.amdhsa_exception_fp_ieee_overflow 0
		.amdhsa_exception_fp_ieee_underflow 0
		.amdhsa_exception_fp_ieee_inexact 0
		.amdhsa_exception_int_div_zero 0
	.end_amdhsa_kernel
	.text
.Lfunc_end10:
	.size	batched_transpose_32x32_half, .Lfunc_end10-batched_transpose_32x32_half
                                        ; -- End function
	.set batched_transpose_32x32_half.num_vgpr, 21
	.set batched_transpose_32x32_half.num_agpr, 0
	.set batched_transpose_32x32_half.numbered_sgpr, 36
	.set batched_transpose_32x32_half.num_named_barrier, 0
	.set batched_transpose_32x32_half.private_seg_size, 0
	.set batched_transpose_32x32_half.uses_vcc, 1
	.set batched_transpose_32x32_half.uses_flat_scratch, 0
	.set batched_transpose_32x32_half.has_dyn_sized_stack, 0
	.set batched_transpose_32x32_half.has_recursion, 0
	.set batched_transpose_32x32_half.has_indirect_call, 0
	.section	.AMDGPU.csdata,"",@progbits
; Kernel info:
; codeLenInByte = 816
; TotalNumSgprs: 40
; NumVgprs: 21
; ScratchSize: 0
; MemoryBound: 0
; FloatMode: 240
; IeeeMode: 1
; LDSByteSize: 2176 bytes/workgroup (compile time only)
; SGPRBlocks: 4
; VGPRBlocks: 5
; NumSGPRsForWavesPerEU: 40
; NumVGPRsForWavesPerEU: 21
; Occupancy: 10
; WaveLimiterHint : 0
; COMPUTE_PGM_RSRC2:SCRATCH_EN: 0
; COMPUTE_PGM_RSRC2:USER_SGPR: 6
; COMPUTE_PGM_RSRC2:TRAP_HANDLER: 0
; COMPUTE_PGM_RSRC2:TGID_X_EN: 1
; COMPUTE_PGM_RSRC2:TGID_Y_EN: 0
; COMPUTE_PGM_RSRC2:TGID_Z_EN: 0
; COMPUTE_PGM_RSRC2:TIDIG_COMP_CNT: 0
	.text
	.protected	batched_transpose_32x32_byte ; -- Begin function batched_transpose_32x32_byte
	.globl	batched_transpose_32x32_byte
	.p2align	8
	.type	batched_transpose_32x32_byte,@function
batched_transpose_32x32_byte:           ; @batched_transpose_32x32_byte
; %bb.0:
	s_load_dwordx8 s[8:15], s[4:5], 0x10
	s_waitcnt lgkmcnt(0)
	s_cmp_ge_u32 s6, s11
	s_cbranch_scc1 .LBB11_19
; %bb.1:
	s_load_dwordx4 s[16:19], s[4:5], 0x0
	s_add_i32 s0, s8, 31
	s_lshr_b32 s7, s0, 5
	s_add_i32 s0, s9, 31
	v_and_b32_e32 v7, 15, v0
	s_lshl_b32 s1, s9, 4
	v_lshrrev_b32_e32 v8, 4, v0
	s_waitcnt lgkmcnt(0)
	s_add_u32 s21, s18, s1
	v_lshlrev_b32_e32 v0, 2, v7
	s_movk_i32 s1, 0x44
	v_mad_u32_u24 v9, v8, s1, v0
	v_lshlrev_b32_e32 v0, 2, v8
	s_addc_u32 s22, s19, 0
	v_mad_u32_u24 v10, v7, s1, v0
	s_lshl_b32 s1, s8, 4
	s_add_u32 s23, s16, s1
	s_addc_u32 s24, s17, 0
	s_andn2_b32 s0, s0, 31
	s_mov_b32 s20, s9
	s_sub_i32 s25, 0, s0
	s_lshl_b32 s26, s6, 5
	s_lshl_b32 s27, s10, 5
	v_mov_b32_e32 v1, 0
	v_mov_b32_e32 v11, s8
	s_mov_b32 s28, 0xc0c0004
                                        ; implicit-def: $vgpr12
                                        ; implicit-def: $vgpr13
                                        ; implicit-def: $vgpr14
                                        ; implicit-def: $vgpr15
	s_branch .LBB11_3
.LBB11_2:                               ;   in Loop: Header=BB11_3 Depth=1
	s_or_b64 exec, exec, s[0:1]
	s_add_i32 s6, s6, s10
	s_add_i32 s26, s26, s27
	s_cmp_lt_u32 s6, s11
	s_cbranch_scc0 .LBB11_19
.LBB11_3:                               ; =>This Inner Loop Header: Depth=1
	s_mul_hi_u32 s0, s14, s6
	s_add_i32 s0, s6, s0
	s_lshr_b32 s0, s0, s15
	s_mul_hi_u32 s1, s0, s12
	s_add_i32 s1, s0, s1
	s_lshr_b32 s29, s1, s13
	s_mul_i32 s1, s29, s7
	s_sub_i32 s1, s0, s1
	s_lshl_b32 s30, s1, 5
	v_or_b32_e32 v0, s30, v8
	s_mul_i32 s31, s25, s0
	v_mad_u64_u32 v[3:4], s[0:1], s29, v11, v[0:1]
	s_add_i32 s31, s31, s26
	v_add_u32_e32 v5, s31, v7
	s_waitcnt lgkmcnt(0)
	v_mov_b32_e32 v6, v1
	v_mad_u64_u32 v[2:3], s[0:1], v3, s20, v[5:6]
	v_cmp_gt_u32_e64 s[2:3], s8, v0
	v_cmp_gt_u32_e32 vcc, s9, v5
	v_mad_u64_u32 v[3:4], s[0:1], v4, s20, v[3:4]
	s_and_b64 s[0:1], s[2:3], vcc
	s_waitcnt vmcnt(0)
	s_barrier
	s_and_saveexec_b64 s[4:5], s[0:1]
	s_cbranch_execz .LBB11_5
; %bb.4:                                ;   in Loop: Header=BB11_3 Depth=1
	v_mov_b32_e32 v4, s19
	v_add_co_u32_e64 v15, s[0:1], s18, v2
	v_addc_co_u32_e64 v16, s[0:1], v4, v3, s[0:1]
	global_load_ubyte v15, v[15:16], off
.LBB11_5:                               ;   in Loop: Header=BB11_3 Depth=1
	s_or_b64 exec, exec, s[4:5]
	v_add_u32_e32 v4, 16, v5
	v_cmp_gt_u32_e64 s[0:1], s9, v4
	s_and_b64 s[2:3], s[2:3], s[0:1]
	s_and_saveexec_b64 s[4:5], s[2:3]
	s_cbranch_execz .LBB11_7
; %bb.6:                                ;   in Loop: Header=BB11_3 Depth=1
	v_mov_b32_e32 v5, s19
	v_add_co_u32_e64 v4, s[2:3], s18, v2
	v_addc_co_u32_e64 v5, s[2:3], v5, v3, s[2:3]
	global_load_ubyte v13, v[4:5], off offset:16
.LBB11_7:                               ;   in Loop: Header=BB11_3 Depth=1
	s_or_b64 exec, exec, s[4:5]
	v_add_u32_e32 v0, 16, v0
	v_cmp_gt_u32_e64 s[2:3], s8, v0
	s_and_b64 s[34:35], s[2:3], vcc
	s_and_saveexec_b64 s[4:5], s[34:35]
	s_cbranch_execz .LBB11_9
; %bb.8:                                ;   in Loop: Header=BB11_3 Depth=1
	v_mov_b32_e32 v0, s22
	v_add_co_u32_e32 v4, vcc, s21, v2
	v_addc_co_u32_e32 v5, vcc, v0, v3, vcc
	global_load_ubyte v14, v[4:5], off
.LBB11_9:                               ;   in Loop: Header=BB11_3 Depth=1
	s_or_b64 exec, exec, s[4:5]
	s_and_b64 s[2:3], s[2:3], s[0:1]
	s_and_saveexec_b64 s[0:1], s[2:3]
	s_cbranch_execz .LBB11_11
; %bb.10:                               ;   in Loop: Header=BB11_3 Depth=1
	v_mov_b32_e32 v0, s22
	v_add_co_u32_e32 v2, vcc, s21, v2
	v_addc_co_u32_e32 v3, vcc, v0, v3, vcc
	global_load_ubyte v12, v[2:3], off offset:16
.LBB11_11:                              ;   in Loop: Header=BB11_3 Depth=1
	s_or_b64 exec, exec, s[0:1]
	s_waitcnt vmcnt(0)
	v_perm_b32 v0, v15, v14, s28
	v_perm_b32 v2, v13, v12, s28
	v_lshl_or_b32 v0, v2, 16, v0
	ds_write_b32 v9, v0
	v_add_u32_e32 v0, s31, v8
	v_mov_b32_e32 v2, s20
	v_mad_u64_u32 v[3:4], s[0:1], s29, v2, v[0:1]
	v_or_b32_e32 v5, s30, v7
	v_mov_b32_e32 v6, v1
	v_mad_u64_u32 v[2:3], s[0:1], v3, s8, v[5:6]
	s_waitcnt lgkmcnt(0)
	s_barrier
	ds_read_u8 v16, v10 offset:1
	ds_read_u16 v6, v10 offset:2
	v_mad_u64_u32 v[3:4], s[0:1], v4, s8, v[3:4]
	v_cmp_gt_u32_e32 vcc, s8, v5
	v_cmp_gt_u32_e64 s[2:3], s9, v0
	s_and_b64 s[0:1], s[2:3], vcc
	s_and_saveexec_b64 s[4:5], s[0:1]
	s_cbranch_execz .LBB11_13
; %bb.12:                               ;   in Loop: Header=BB11_3 Depth=1
	ds_read_u8 v19, v10
	v_mov_b32_e32 v4, s17
	v_add_co_u32_e64 v17, s[0:1], s16, v2
	v_addc_co_u32_e64 v18, s[0:1], v4, v3, s[0:1]
	s_waitcnt lgkmcnt(0)
	global_store_byte v[17:18], v19, off
.LBB11_13:                              ;   in Loop: Header=BB11_3 Depth=1
	s_or_b64 exec, exec, s[4:5]
	v_or_b32_e32 v4, 16, v5
	v_cmp_gt_u32_e64 s[0:1], s8, v4
	s_and_b64 s[2:3], s[2:3], s[0:1]
	s_and_saveexec_b64 s[4:5], s[2:3]
	s_cbranch_execz .LBB11_15
; %bb.14:                               ;   in Loop: Header=BB11_3 Depth=1
	v_mov_b32_e32 v5, s17
	v_add_co_u32_e64 v4, s[2:3], s16, v2
	v_addc_co_u32_e64 v5, s[2:3], v5, v3, s[2:3]
	s_waitcnt lgkmcnt(1)
	global_store_byte v[4:5], v16, off offset:16
.LBB11_15:                              ;   in Loop: Header=BB11_3 Depth=1
	s_or_b64 exec, exec, s[4:5]
	v_add_u32_e32 v0, 16, v0
	v_cmp_gt_u32_e64 s[2:3], s9, v0
	s_and_b64 s[30:31], s[2:3], vcc
	s_and_saveexec_b64 s[4:5], s[30:31]
	s_cbranch_execz .LBB11_17
; %bb.16:                               ;   in Loop: Header=BB11_3 Depth=1
	v_mov_b32_e32 v0, s24
	v_add_co_u32_e32 v4, vcc, s23, v2
	v_addc_co_u32_e32 v5, vcc, v0, v3, vcc
	s_waitcnt lgkmcnt(0)
	global_store_byte v[4:5], v6, off
.LBB11_17:                              ;   in Loop: Header=BB11_3 Depth=1
	s_or_b64 exec, exec, s[4:5]
	s_and_b64 s[2:3], s[2:3], s[0:1]
	s_and_saveexec_b64 s[0:1], s[2:3]
	s_cbranch_execz .LBB11_2
; %bb.18:                               ;   in Loop: Header=BB11_3 Depth=1
	v_mov_b32_e32 v4, s24
	v_add_co_u32_e32 v2, vcc, s23, v2
	s_waitcnt lgkmcnt(0)
	v_lshrrev_b16_e32 v0, 8, v6
	v_addc_co_u32_e32 v3, vcc, v4, v3, vcc
	global_store_byte v[2:3], v0, off offset:16
	s_branch .LBB11_2
.LBB11_19:
	s_endpgm
	.section	.rodata,"a",@progbits
	.p2align	6, 0x0
	.amdhsa_kernel batched_transpose_32x32_byte
		.amdhsa_group_segment_fixed_size 1088
		.amdhsa_private_segment_fixed_size 0
		.amdhsa_kernarg_size 48
		.amdhsa_user_sgpr_count 6
		.amdhsa_user_sgpr_private_segment_buffer 1
		.amdhsa_user_sgpr_dispatch_ptr 0
		.amdhsa_user_sgpr_queue_ptr 0
		.amdhsa_user_sgpr_kernarg_segment_ptr 1
		.amdhsa_user_sgpr_dispatch_id 0
		.amdhsa_user_sgpr_flat_scratch_init 0
		.amdhsa_user_sgpr_private_segment_size 0
		.amdhsa_uses_dynamic_stack 0
		.amdhsa_system_sgpr_private_segment_wavefront_offset 0
		.amdhsa_system_sgpr_workgroup_id_x 1
		.amdhsa_system_sgpr_workgroup_id_y 0
		.amdhsa_system_sgpr_workgroup_id_z 0
		.amdhsa_system_sgpr_workgroup_info 0
		.amdhsa_system_vgpr_workitem_id 0
		.amdhsa_next_free_vgpr 20
		.amdhsa_next_free_sgpr 36
		.amdhsa_reserve_vcc 1
		.amdhsa_reserve_flat_scratch 0
		.amdhsa_float_round_mode_32 0
		.amdhsa_float_round_mode_16_64 0
		.amdhsa_float_denorm_mode_32 3
		.amdhsa_float_denorm_mode_16_64 3
		.amdhsa_dx10_clamp 1
		.amdhsa_ieee_mode 1
		.amdhsa_fp16_overflow 0
		.amdhsa_exception_fp_ieee_invalid_op 0
		.amdhsa_exception_fp_denorm_src 0
		.amdhsa_exception_fp_ieee_div_zero 0
		.amdhsa_exception_fp_ieee_overflow 0
		.amdhsa_exception_fp_ieee_underflow 0
		.amdhsa_exception_fp_ieee_inexact 0
		.amdhsa_exception_int_div_zero 0
	.end_amdhsa_kernel
	.text
.Lfunc_end11:
	.size	batched_transpose_32x32_byte, .Lfunc_end11-batched_transpose_32x32_byte
                                        ; -- End function
	.set batched_transpose_32x32_byte.num_vgpr, 20
	.set batched_transpose_32x32_byte.num_agpr, 0
	.set batched_transpose_32x32_byte.numbered_sgpr, 36
	.set batched_transpose_32x32_byte.num_named_barrier, 0
	.set batched_transpose_32x32_byte.private_seg_size, 0
	.set batched_transpose_32x32_byte.uses_vcc, 1
	.set batched_transpose_32x32_byte.uses_flat_scratch, 0
	.set batched_transpose_32x32_byte.has_dyn_sized_stack, 0
	.set batched_transpose_32x32_byte.has_recursion, 0
	.set batched_transpose_32x32_byte.has_indirect_call, 0
	.section	.AMDGPU.csdata,"",@progbits
; Kernel info:
; codeLenInByte = 780
; TotalNumSgprs: 40
; NumVgprs: 20
; ScratchSize: 0
; MemoryBound: 0
; FloatMode: 240
; IeeeMode: 1
; LDSByteSize: 1088 bytes/workgroup (compile time only)
; SGPRBlocks: 4
; VGPRBlocks: 4
; NumSGPRsForWavesPerEU: 40
; NumVGPRsForWavesPerEU: 20
; Occupancy: 10
; WaveLimiterHint : 0
; COMPUTE_PGM_RSRC2:SCRATCH_EN: 0
; COMPUTE_PGM_RSRC2:USER_SGPR: 6
; COMPUTE_PGM_RSRC2:TRAP_HANDLER: 0
; COMPUTE_PGM_RSRC2:TGID_X_EN: 1
; COMPUTE_PGM_RSRC2:TGID_Y_EN: 0
; COMPUTE_PGM_RSRC2:TGID_Z_EN: 0
; COMPUTE_PGM_RSRC2:TIDIG_COMP_CNT: 0
	.text
	.protected	batched_transpose_4x256_dword ; -- Begin function batched_transpose_4x256_dword
	.globl	batched_transpose_4x256_dword
	.p2align	8
	.type	batched_transpose_4x256_dword,@function
batched_transpose_4x256_dword:          ; @batched_transpose_4x256_dword
; %bb.0:
	s_load_dwordx8 s[8:15], s[4:5], 0x10
	s_waitcnt lgkmcnt(0)
	s_cmp_ge_u32 s6, s11
	s_cbranch_scc1 .LBB12_19
; %bb.1:
	s_load_dwordx4 s[16:19], s[4:5], 0x0
	s_mov_b32 s3, 0
	s_add_i32 s0, s8, 0xff
	s_mov_b32 s4, s8
	s_mov_b32 s5, s3
	s_lshr_b32 s7, s0, 8
	s_add_i32 s20, s9, 3
	s_lshl_b64 s[0:1], s[4:5], 2
	s_waitcnt lgkmcnt(0)
	s_add_u32 s5, s16, s0
	s_addc_u32 s29, s17, s1
	s_lshl_b32 s2, s8, 1
	s_lshl_b64 s[0:1], s[2:3], 2
	s_add_u32 s30, s16, s0
	s_mul_i32 s2, s8, 3
	s_addc_u32 s31, s17, s1
	s_lshl_b64 s[0:1], s[2:3], 2
	s_add_u32 s33, s16, s0
	s_addc_u32 s34, s17, s1
	s_and_b32 s0, s20, -4
	s_mov_b32 s28, s9
	s_sub_i32 s35, 0, s0
	s_lshl_b32 s36, s6, 2
	s_lshl_b32 s37, s10, 2
	v_mov_b32_e32 v2, 0
	v_mov_b32_e32 v5, s8
                                        ; implicit-def: $vgpr6
                                        ; implicit-def: $vgpr7
                                        ; implicit-def: $vgpr8
                                        ; implicit-def: $vgpr9
	s_branch .LBB12_3
.LBB12_2:                               ;   in Loop: Header=BB12_3 Depth=1
	s_or_b64 exec, exec, s[20:21]
	s_add_i32 s6, s6, s10
	s_add_i32 s36, s36, s37
	s_cmp_lt_u32 s6, s11
	s_cbranch_scc0 .LBB12_19
.LBB12_3:                               ; =>This Inner Loop Header: Depth=1
	s_mul_hi_u32 s0, s14, s6
	s_add_i32 s0, s6, s0
	s_lshr_b32 s0, s0, s15
	s_mul_hi_u32 s1, s0, s12
	s_add_i32 s1, s0, s1
	s_lshr_b32 s38, s1, s13
	s_mul_i32 s1, s38, s7
	s_sub_i32 s1, s0, s1
	v_lshl_or_b32 v1, s1, 8, v0
	s_mul_i32 s2, s35, s0
	v_mad_u64_u32 v[3:4], s[0:1], s38, v5, v[1:2]
	s_add_i32 s2, s36, s2
	v_mov_b32_e32 v11, s3
	v_mov_b32_e32 v10, s2
	v_mad_u64_u32 v[10:11], s[0:1], v3, s28, v[10:11]
	s_cmp_lt_u32 s2, s9
	v_cmp_gt_u32_e32 vcc, s8, v1
	v_mov_b32_e32 v3, v11
	v_mad_u64_u32 v[3:4], s[0:1], v4, s28, v[3:4]
	s_cselect_b64 s[0:1], -1, 0
	s_and_b64 s[20:21], s[0:1], vcc
	v_mov_b32_e32 v11, v3
	v_lshlrev_b64 v[3:4], 2, v[10:11]
	s_and_saveexec_b64 s[22:23], s[20:21]
	s_cbranch_execz .LBB12_5
; %bb.4:                                ;   in Loop: Header=BB12_3 Depth=1
	v_mov_b32_e32 v10, s19
	s_waitcnt vmcnt(0)
	v_add_co_u32_e64 v9, s[0:1], s18, v3
	v_addc_co_u32_e64 v10, s[0:1], v10, v4, s[0:1]
	global_load_dword v9, v[9:10], off
.LBB12_5:                               ;   in Loop: Header=BB12_3 Depth=1
	s_or_b64 exec, exec, s[22:23]
	s_add_i32 s0, s2, 1
	s_cmp_lt_u32 s0, s9
	s_cselect_b64 s[0:1], -1, 0
	s_and_b64 s[22:23], vcc, s[0:1]
	s_and_saveexec_b64 s[24:25], s[22:23]
	s_cbranch_execz .LBB12_7
; %bb.6:                                ;   in Loop: Header=BB12_3 Depth=1
	s_waitcnt vmcnt(0)
	v_mov_b32_e32 v8, s19
	v_add_co_u32_e64 v10, s[0:1], s18, v3
	v_addc_co_u32_e64 v11, s[0:1], v8, v4, s[0:1]
	global_load_dword v8, v[10:11], off offset:4
.LBB12_7:                               ;   in Loop: Header=BB12_3 Depth=1
	s_or_b64 exec, exec, s[24:25]
	s_add_i32 s0, s2, 2
	s_cmp_lt_u32 s0, s9
	s_cselect_b64 s[0:1], -1, 0
	s_and_b64 s[24:25], vcc, s[0:1]
	s_and_saveexec_b64 s[26:27], s[24:25]
	s_cbranch_execz .LBB12_9
; %bb.8:                                ;   in Loop: Header=BB12_3 Depth=1
	s_waitcnt vmcnt(0)
	v_mov_b32_e32 v7, s19
	v_add_co_u32_e64 v10, s[0:1], s18, v3
	v_addc_co_u32_e64 v11, s[0:1], v7, v4, s[0:1]
	global_load_dword v7, v[10:11], off offset:8
.LBB12_9:                               ;   in Loop: Header=BB12_3 Depth=1
	s_or_b64 exec, exec, s[26:27]
	s_add_i32 s0, s2, 3
	s_cmp_lt_u32 s0, s9
	s_cselect_b64 s[0:1], -1, 0
	s_and_b64 s[0:1], vcc, s[0:1]
	s_and_saveexec_b64 s[26:27], s[0:1]
	s_cbranch_execz .LBB12_11
; %bb.10:                               ;   in Loop: Header=BB12_3 Depth=1
	s_waitcnt vmcnt(0)
	v_mov_b32_e32 v6, s19
	v_add_co_u32_e32 v3, vcc, s18, v3
	v_addc_co_u32_e32 v4, vcc, v6, v4, vcc
	global_load_dword v6, v[3:4], off offset:12
.LBB12_11:                              ;   in Loop: Header=BB12_3 Depth=1
	s_or_b64 exec, exec, s[26:27]
	s_mul_i32 s26, s38, s28
	s_add_u32 s2, s26, s2
	v_mov_b32_e32 v3, s4
	v_mad_u64_u32 v[3:4], s[26:27], s2, v3, v[1:2]
	s_mul_hi_u32 s2, s38, s28
	s_addc_u32 s2, s2, 0
	s_mul_i32 s2, s2, s4
	v_add_u32_e32 v4, s2, v4
	v_lshlrev_b64 v[3:4], 2, v[3:4]
	s_and_saveexec_b64 s[26:27], s[20:21]
	s_cbranch_execnz .LBB12_15
; %bb.12:                               ;   in Loop: Header=BB12_3 Depth=1
	s_or_b64 exec, exec, s[26:27]
	s_and_saveexec_b64 s[20:21], s[22:23]
	s_cbranch_execnz .LBB12_16
.LBB12_13:                              ;   in Loop: Header=BB12_3 Depth=1
	s_or_b64 exec, exec, s[20:21]
	s_and_saveexec_b64 s[20:21], s[24:25]
	s_cbranch_execnz .LBB12_17
.LBB12_14:                              ;   in Loop: Header=BB12_3 Depth=1
	s_or_b64 exec, exec, s[20:21]
	s_and_saveexec_b64 s[20:21], s[0:1]
	s_cbranch_execz .LBB12_2
	s_branch .LBB12_18
.LBB12_15:                              ;   in Loop: Header=BB12_3 Depth=1
	v_mov_b32_e32 v1, s17
	v_add_co_u32_e32 v10, vcc, s16, v3
	v_addc_co_u32_e32 v11, vcc, v1, v4, vcc
	s_waitcnt vmcnt(0)
	global_store_dword v[10:11], v9, off
	s_or_b64 exec, exec, s[26:27]
	s_and_saveexec_b64 s[20:21], s[22:23]
	s_cbranch_execz .LBB12_13
.LBB12_16:                              ;   in Loop: Header=BB12_3 Depth=1
	v_mov_b32_e32 v1, s29
	v_add_co_u32_e32 v10, vcc, s5, v3
	v_addc_co_u32_e32 v11, vcc, v1, v4, vcc
	s_waitcnt vmcnt(0)
	global_store_dword v[10:11], v8, off
	s_or_b64 exec, exec, s[20:21]
	s_and_saveexec_b64 s[20:21], s[24:25]
	s_cbranch_execz .LBB12_14
.LBB12_17:                              ;   in Loop: Header=BB12_3 Depth=1
	v_mov_b32_e32 v1, s31
	v_add_co_u32_e32 v10, vcc, s30, v3
	v_addc_co_u32_e32 v11, vcc, v1, v4, vcc
	s_waitcnt vmcnt(0)
	global_store_dword v[10:11], v7, off
	s_or_b64 exec, exec, s[20:21]
	s_and_saveexec_b64 s[20:21], s[0:1]
	s_cbranch_execz .LBB12_2
.LBB12_18:                              ;   in Loop: Header=BB12_3 Depth=1
	v_mov_b32_e32 v1, s34
	v_add_co_u32_e32 v3, vcc, s33, v3
	v_addc_co_u32_e32 v4, vcc, v1, v4, vcc
	s_waitcnt vmcnt(0)
	global_store_dword v[3:4], v6, off
	s_branch .LBB12_2
.LBB12_19:
	s_endpgm
	.section	.rodata,"a",@progbits
	.p2align	6, 0x0
	.amdhsa_kernel batched_transpose_4x256_dword
		.amdhsa_group_segment_fixed_size 0
		.amdhsa_private_segment_fixed_size 0
		.amdhsa_kernarg_size 48
		.amdhsa_user_sgpr_count 6
		.amdhsa_user_sgpr_private_segment_buffer 1
		.amdhsa_user_sgpr_dispatch_ptr 0
		.amdhsa_user_sgpr_queue_ptr 0
		.amdhsa_user_sgpr_kernarg_segment_ptr 1
		.amdhsa_user_sgpr_dispatch_id 0
		.amdhsa_user_sgpr_flat_scratch_init 0
		.amdhsa_user_sgpr_private_segment_size 0
		.amdhsa_uses_dynamic_stack 0
		.amdhsa_system_sgpr_private_segment_wavefront_offset 0
		.amdhsa_system_sgpr_workgroup_id_x 1
		.amdhsa_system_sgpr_workgroup_id_y 0
		.amdhsa_system_sgpr_workgroup_id_z 0
		.amdhsa_system_sgpr_workgroup_info 0
		.amdhsa_system_vgpr_workitem_id 0
		.amdhsa_next_free_vgpr 12
		.amdhsa_next_free_sgpr 39
		.amdhsa_reserve_vcc 1
		.amdhsa_reserve_flat_scratch 0
		.amdhsa_float_round_mode_32 0
		.amdhsa_float_round_mode_16_64 0
		.amdhsa_float_denorm_mode_32 3
		.amdhsa_float_denorm_mode_16_64 3
		.amdhsa_dx10_clamp 1
		.amdhsa_ieee_mode 1
		.amdhsa_fp16_overflow 0
		.amdhsa_exception_fp_ieee_invalid_op 0
		.amdhsa_exception_fp_denorm_src 0
		.amdhsa_exception_fp_ieee_div_zero 0
		.amdhsa_exception_fp_ieee_overflow 0
		.amdhsa_exception_fp_ieee_underflow 0
		.amdhsa_exception_fp_ieee_inexact 0
		.amdhsa_exception_int_div_zero 0
	.end_amdhsa_kernel
	.text
.Lfunc_end12:
	.size	batched_transpose_4x256_dword, .Lfunc_end12-batched_transpose_4x256_dword
                                        ; -- End function
	.set batched_transpose_4x256_dword.num_vgpr, 12
	.set batched_transpose_4x256_dword.num_agpr, 0
	.set batched_transpose_4x256_dword.numbered_sgpr, 39
	.set batched_transpose_4x256_dword.num_named_barrier, 0
	.set batched_transpose_4x256_dword.private_seg_size, 0
	.set batched_transpose_4x256_dword.uses_vcc, 1
	.set batched_transpose_4x256_dword.uses_flat_scratch, 0
	.set batched_transpose_4x256_dword.has_dyn_sized_stack, 0
	.set batched_transpose_4x256_dword.has_recursion, 0
	.set batched_transpose_4x256_dword.has_indirect_call, 0
	.section	.AMDGPU.csdata,"",@progbits
; Kernel info:
; codeLenInByte = 716
; TotalNumSgprs: 43
; NumVgprs: 12
; ScratchSize: 0
; MemoryBound: 0
; FloatMode: 240
; IeeeMode: 1
; LDSByteSize: 0 bytes/workgroup (compile time only)
; SGPRBlocks: 5
; VGPRBlocks: 2
; NumSGPRsForWavesPerEU: 43
; NumVGPRsForWavesPerEU: 12
; Occupancy: 10
; WaveLimiterHint : 0
; COMPUTE_PGM_RSRC2:SCRATCH_EN: 0
; COMPUTE_PGM_RSRC2:USER_SGPR: 6
; COMPUTE_PGM_RSRC2:TRAP_HANDLER: 0
; COMPUTE_PGM_RSRC2:TGID_X_EN: 1
; COMPUTE_PGM_RSRC2:TGID_Y_EN: 0
; COMPUTE_PGM_RSRC2:TGID_Z_EN: 0
; COMPUTE_PGM_RSRC2:TIDIG_COMP_CNT: 0
	.text
	.protected	batched_transpose_4x256_half ; -- Begin function batched_transpose_4x256_half
	.globl	batched_transpose_4x256_half
	.p2align	8
	.type	batched_transpose_4x256_half,@function
batched_transpose_4x256_half:           ; @batched_transpose_4x256_half
; %bb.0:
	s_load_dwordx8 s[8:15], s[4:5], 0x10
	s_waitcnt lgkmcnt(0)
	s_cmp_ge_u32 s6, s11
	s_cbranch_scc1 .LBB13_19
; %bb.1:
	s_load_dwordx4 s[16:19], s[4:5], 0x0
	s_mov_b32 s3, 0
	s_add_i32 s0, s8, 0xff
	s_mov_b32 s4, s8
	s_mov_b32 s5, s3
	s_lshr_b32 s7, s0, 8
	s_add_i32 s20, s9, 3
	s_lshl_b64 s[0:1], s[4:5], 1
	s_waitcnt lgkmcnt(0)
	s_add_u32 s5, s16, s0
	s_addc_u32 s29, s17, s1
	s_lshl_b32 s2, s8, 1
	s_lshl_b64 s[0:1], s[2:3], 1
	s_add_u32 s30, s16, s0
	s_mul_i32 s2, s8, 3
	s_addc_u32 s31, s17, s1
	s_lshl_b64 s[0:1], s[2:3], 1
	s_add_u32 s33, s16, s0
	s_addc_u32 s34, s17, s1
	s_and_b32 s0, s20, -4
	s_mov_b32 s28, s9
	s_sub_i32 s35, 0, s0
	s_lshl_b32 s36, s6, 2
	s_lshl_b32 s37, s10, 2
	v_mov_b32_e32 v2, 0
	v_mov_b32_e32 v5, s8
                                        ; implicit-def: $vgpr6
                                        ; implicit-def: $vgpr7
                                        ; implicit-def: $vgpr8
                                        ; implicit-def: $vgpr9
	s_branch .LBB13_3
.LBB13_2:                               ;   in Loop: Header=BB13_3 Depth=1
	s_or_b64 exec, exec, s[20:21]
	s_add_i32 s6, s6, s10
	s_add_i32 s36, s36, s37
	s_cmp_lt_u32 s6, s11
	s_cbranch_scc0 .LBB13_19
.LBB13_3:                               ; =>This Inner Loop Header: Depth=1
	s_mul_hi_u32 s0, s14, s6
	s_add_i32 s0, s6, s0
	s_lshr_b32 s0, s0, s15
	s_mul_hi_u32 s1, s0, s12
	s_add_i32 s1, s0, s1
	s_lshr_b32 s38, s1, s13
	s_mul_i32 s1, s38, s7
	s_sub_i32 s1, s0, s1
	v_lshl_or_b32 v1, s1, 8, v0
	s_mul_i32 s2, s35, s0
	v_mad_u64_u32 v[3:4], s[0:1], s38, v5, v[1:2]
	s_add_i32 s2, s36, s2
	v_mov_b32_e32 v11, s3
	v_mov_b32_e32 v10, s2
	v_mad_u64_u32 v[10:11], s[0:1], v3, s28, v[10:11]
	s_cmp_lt_u32 s2, s9
	v_cmp_gt_u32_e32 vcc, s8, v1
	v_mov_b32_e32 v3, v11
	v_mad_u64_u32 v[3:4], s[0:1], v4, s28, v[3:4]
	s_cselect_b64 s[0:1], -1, 0
	s_and_b64 s[20:21], s[0:1], vcc
	v_mov_b32_e32 v11, v3
	v_lshlrev_b64 v[3:4], 1, v[10:11]
	s_and_saveexec_b64 s[22:23], s[20:21]
	s_cbranch_execz .LBB13_5
; %bb.4:                                ;   in Loop: Header=BB13_3 Depth=1
	v_mov_b32_e32 v10, s19
	s_waitcnt vmcnt(0)
	v_add_co_u32_e64 v9, s[0:1], s18, v3
	v_addc_co_u32_e64 v10, s[0:1], v10, v4, s[0:1]
	global_load_ushort v9, v[9:10], off
.LBB13_5:                               ;   in Loop: Header=BB13_3 Depth=1
	s_or_b64 exec, exec, s[22:23]
	s_add_i32 s0, s2, 1
	s_cmp_lt_u32 s0, s9
	s_cselect_b64 s[0:1], -1, 0
	s_and_b64 s[22:23], vcc, s[0:1]
	s_and_saveexec_b64 s[24:25], s[22:23]
	s_cbranch_execz .LBB13_7
; %bb.6:                                ;   in Loop: Header=BB13_3 Depth=1
	s_waitcnt vmcnt(0)
	v_mov_b32_e32 v8, s19
	v_add_co_u32_e64 v10, s[0:1], s18, v3
	v_addc_co_u32_e64 v11, s[0:1], v8, v4, s[0:1]
	global_load_ushort v8, v[10:11], off offset:2
.LBB13_7:                               ;   in Loop: Header=BB13_3 Depth=1
	s_or_b64 exec, exec, s[24:25]
	s_add_i32 s0, s2, 2
	s_cmp_lt_u32 s0, s9
	s_cselect_b64 s[0:1], -1, 0
	s_and_b64 s[24:25], vcc, s[0:1]
	s_and_saveexec_b64 s[26:27], s[24:25]
	s_cbranch_execz .LBB13_9
; %bb.8:                                ;   in Loop: Header=BB13_3 Depth=1
	s_waitcnt vmcnt(0)
	v_mov_b32_e32 v7, s19
	v_add_co_u32_e64 v10, s[0:1], s18, v3
	v_addc_co_u32_e64 v11, s[0:1], v7, v4, s[0:1]
	global_load_ushort v7, v[10:11], off offset:4
.LBB13_9:                               ;   in Loop: Header=BB13_3 Depth=1
	s_or_b64 exec, exec, s[26:27]
	s_add_i32 s0, s2, 3
	s_cmp_lt_u32 s0, s9
	s_cselect_b64 s[0:1], -1, 0
	s_and_b64 s[0:1], vcc, s[0:1]
	s_and_saveexec_b64 s[26:27], s[0:1]
	s_cbranch_execz .LBB13_11
; %bb.10:                               ;   in Loop: Header=BB13_3 Depth=1
	s_waitcnt vmcnt(0)
	v_mov_b32_e32 v6, s19
	v_add_co_u32_e32 v3, vcc, s18, v3
	v_addc_co_u32_e32 v4, vcc, v6, v4, vcc
	global_load_ushort v6, v[3:4], off offset:6
.LBB13_11:                              ;   in Loop: Header=BB13_3 Depth=1
	s_or_b64 exec, exec, s[26:27]
	s_mul_i32 s26, s38, s28
	s_add_u32 s2, s26, s2
	v_mov_b32_e32 v3, s4
	v_mad_u64_u32 v[3:4], s[26:27], s2, v3, v[1:2]
	s_mul_hi_u32 s2, s38, s28
	s_addc_u32 s2, s2, 0
	s_mul_i32 s2, s2, s4
	v_add_u32_e32 v4, s2, v4
	v_lshlrev_b64 v[3:4], 1, v[3:4]
	s_and_saveexec_b64 s[26:27], s[20:21]
	s_cbranch_execnz .LBB13_15
; %bb.12:                               ;   in Loop: Header=BB13_3 Depth=1
	s_or_b64 exec, exec, s[26:27]
	s_and_saveexec_b64 s[20:21], s[22:23]
	s_cbranch_execnz .LBB13_16
.LBB13_13:                              ;   in Loop: Header=BB13_3 Depth=1
	s_or_b64 exec, exec, s[20:21]
	s_and_saveexec_b64 s[20:21], s[24:25]
	s_cbranch_execnz .LBB13_17
.LBB13_14:                              ;   in Loop: Header=BB13_3 Depth=1
	s_or_b64 exec, exec, s[20:21]
	s_and_saveexec_b64 s[20:21], s[0:1]
	s_cbranch_execz .LBB13_2
	s_branch .LBB13_18
.LBB13_15:                              ;   in Loop: Header=BB13_3 Depth=1
	v_mov_b32_e32 v1, s17
	v_add_co_u32_e32 v10, vcc, s16, v3
	v_addc_co_u32_e32 v11, vcc, v1, v4, vcc
	s_waitcnt vmcnt(0)
	global_store_short v[10:11], v9, off
	s_or_b64 exec, exec, s[26:27]
	s_and_saveexec_b64 s[20:21], s[22:23]
	s_cbranch_execz .LBB13_13
.LBB13_16:                              ;   in Loop: Header=BB13_3 Depth=1
	v_mov_b32_e32 v1, s29
	v_add_co_u32_e32 v10, vcc, s5, v3
	v_addc_co_u32_e32 v11, vcc, v1, v4, vcc
	s_waitcnt vmcnt(0)
	global_store_short v[10:11], v8, off
	s_or_b64 exec, exec, s[20:21]
	s_and_saveexec_b64 s[20:21], s[24:25]
	s_cbranch_execz .LBB13_14
.LBB13_17:                              ;   in Loop: Header=BB13_3 Depth=1
	v_mov_b32_e32 v1, s31
	v_add_co_u32_e32 v10, vcc, s30, v3
	v_addc_co_u32_e32 v11, vcc, v1, v4, vcc
	s_waitcnt vmcnt(0)
	global_store_short v[10:11], v7, off
	s_or_b64 exec, exec, s[20:21]
	s_and_saveexec_b64 s[20:21], s[0:1]
	s_cbranch_execz .LBB13_2
.LBB13_18:                              ;   in Loop: Header=BB13_3 Depth=1
	v_mov_b32_e32 v1, s34
	v_add_co_u32_e32 v3, vcc, s33, v3
	v_addc_co_u32_e32 v4, vcc, v1, v4, vcc
	s_waitcnt vmcnt(0)
	global_store_short v[3:4], v6, off
	s_branch .LBB13_2
.LBB13_19:
	s_endpgm
	.section	.rodata,"a",@progbits
	.p2align	6, 0x0
	.amdhsa_kernel batched_transpose_4x256_half
		.amdhsa_group_segment_fixed_size 0
		.amdhsa_private_segment_fixed_size 0
		.amdhsa_kernarg_size 48
		.amdhsa_user_sgpr_count 6
		.amdhsa_user_sgpr_private_segment_buffer 1
		.amdhsa_user_sgpr_dispatch_ptr 0
		.amdhsa_user_sgpr_queue_ptr 0
		.amdhsa_user_sgpr_kernarg_segment_ptr 1
		.amdhsa_user_sgpr_dispatch_id 0
		.amdhsa_user_sgpr_flat_scratch_init 0
		.amdhsa_user_sgpr_private_segment_size 0
		.amdhsa_uses_dynamic_stack 0
		.amdhsa_system_sgpr_private_segment_wavefront_offset 0
		.amdhsa_system_sgpr_workgroup_id_x 1
		.amdhsa_system_sgpr_workgroup_id_y 0
		.amdhsa_system_sgpr_workgroup_id_z 0
		.amdhsa_system_sgpr_workgroup_info 0
		.amdhsa_system_vgpr_workitem_id 0
		.amdhsa_next_free_vgpr 12
		.amdhsa_next_free_sgpr 39
		.amdhsa_reserve_vcc 1
		.amdhsa_reserve_flat_scratch 0
		.amdhsa_float_round_mode_32 0
		.amdhsa_float_round_mode_16_64 0
		.amdhsa_float_denorm_mode_32 3
		.amdhsa_float_denorm_mode_16_64 3
		.amdhsa_dx10_clamp 1
		.amdhsa_ieee_mode 1
		.amdhsa_fp16_overflow 0
		.amdhsa_exception_fp_ieee_invalid_op 0
		.amdhsa_exception_fp_denorm_src 0
		.amdhsa_exception_fp_ieee_div_zero 0
		.amdhsa_exception_fp_ieee_overflow 0
		.amdhsa_exception_fp_ieee_underflow 0
		.amdhsa_exception_fp_ieee_inexact 0
		.amdhsa_exception_int_div_zero 0
	.end_amdhsa_kernel
	.text
.Lfunc_end13:
	.size	batched_transpose_4x256_half, .Lfunc_end13-batched_transpose_4x256_half
                                        ; -- End function
	.set batched_transpose_4x256_half.num_vgpr, 12
	.set batched_transpose_4x256_half.num_agpr, 0
	.set batched_transpose_4x256_half.numbered_sgpr, 39
	.set batched_transpose_4x256_half.num_named_barrier, 0
	.set batched_transpose_4x256_half.private_seg_size, 0
	.set batched_transpose_4x256_half.uses_vcc, 1
	.set batched_transpose_4x256_half.uses_flat_scratch, 0
	.set batched_transpose_4x256_half.has_dyn_sized_stack, 0
	.set batched_transpose_4x256_half.has_recursion, 0
	.set batched_transpose_4x256_half.has_indirect_call, 0
	.section	.AMDGPU.csdata,"",@progbits
; Kernel info:
; codeLenInByte = 716
; TotalNumSgprs: 43
; NumVgprs: 12
; ScratchSize: 0
; MemoryBound: 0
; FloatMode: 240
; IeeeMode: 1
; LDSByteSize: 0 bytes/workgroup (compile time only)
; SGPRBlocks: 5
; VGPRBlocks: 2
; NumSGPRsForWavesPerEU: 43
; NumVGPRsForWavesPerEU: 12
; Occupancy: 10
; WaveLimiterHint : 0
; COMPUTE_PGM_RSRC2:SCRATCH_EN: 0
; COMPUTE_PGM_RSRC2:USER_SGPR: 6
; COMPUTE_PGM_RSRC2:TRAP_HANDLER: 0
; COMPUTE_PGM_RSRC2:TGID_X_EN: 1
; COMPUTE_PGM_RSRC2:TGID_Y_EN: 0
; COMPUTE_PGM_RSRC2:TGID_Z_EN: 0
; COMPUTE_PGM_RSRC2:TIDIG_COMP_CNT: 0
	.text
	.protected	batched_transpose_4x256_byte ; -- Begin function batched_transpose_4x256_byte
	.globl	batched_transpose_4x256_byte
	.p2align	8
	.type	batched_transpose_4x256_byte,@function
batched_transpose_4x256_byte:           ; @batched_transpose_4x256_byte
; %bb.0:
	s_load_dwordx8 s[8:15], s[4:5], 0x10
	s_waitcnt lgkmcnt(0)
	s_cmp_ge_u32 s6, s11
	s_cbranch_scc1 .LBB14_19
; %bb.1:
	s_load_dwordx4 s[16:19], s[4:5], 0x0
	s_add_i32 s0, s8, 0xff
	s_lshr_b32 s7, s0, 8
	s_add_i32 s0, s9, 3
	s_mov_b32 s3, 0
	s_waitcnt lgkmcnt(0)
	s_add_u32 s27, s16, s8
	s_addc_u32 s28, s17, 0
	s_lshl_b32 s1, s8, 1
	s_add_u32 s29, s16, s1
	s_addc_u32 s30, s17, 0
	s_mul_i32 s1, s8, 3
	s_add_u32 s31, s16, s1
	s_addc_u32 s33, s17, 0
	s_and_b32 s0, s0, -4
	s_mov_b32 s26, s9
	s_sub_i32 s34, 0, s0
	s_lshl_b32 s35, s6, 2
	s_lshl_b32 s36, s10, 2
	v_mov_b32_e32 v2, 0
	v_mov_b32_e32 v6, s8
                                        ; implicit-def: $vgpr7
                                        ; implicit-def: $vgpr8
                                        ; implicit-def: $vgpr9
                                        ; implicit-def: $vgpr10
	s_branch .LBB14_3
.LBB14_2:                               ;   in Loop: Header=BB14_3 Depth=1
	s_or_b64 exec, exec, s[4:5]
	s_add_i32 s6, s6, s10
	s_add_i32 s35, s35, s36
	s_cmp_lt_u32 s6, s11
	s_cbranch_scc0 .LBB14_19
.LBB14_3:                               ; =>This Inner Loop Header: Depth=1
	s_mul_hi_u32 s0, s14, s6
	s_add_i32 s0, s6, s0
	s_lshr_b32 s0, s0, s15
	s_mul_hi_u32 s1, s0, s12
	s_add_i32 s1, s0, s1
	s_lshr_b32 s37, s1, s13
	s_mul_i32 s1, s37, s7
	s_sub_i32 s1, s0, s1
	v_lshl_or_b32 v1, s1, 8, v0
	s_mul_i32 s2, s34, s0
	v_mad_u64_u32 v[4:5], s[0:1], s37, v6, v[1:2]
	s_add_i32 s2, s35, s2
	v_mov_b32_e32 v12, s3
	v_mov_b32_e32 v11, s2
	v_mad_u64_u32 v[3:4], s[0:1], v4, s26, v[11:12]
	s_cmp_lt_u32 s2, s9
	v_cmp_gt_u32_e32 vcc, s8, v1
	v_mad_u64_u32 v[4:5], s[0:1], v5, s26, v[4:5]
	s_cselect_b64 s[0:1], -1, 0
	s_and_b64 s[4:5], s[0:1], vcc
	s_and_saveexec_b64 s[20:21], s[4:5]
	s_cbranch_execz .LBB14_5
; %bb.4:                                ;   in Loop: Header=BB14_3 Depth=1
	v_mov_b32_e32 v5, s19
	s_waitcnt vmcnt(0)
	v_add_co_u32_e64 v10, s[0:1], s18, v3
	v_addc_co_u32_e64 v11, s[0:1], v5, v4, s[0:1]
	global_load_ubyte v10, v[10:11], off
.LBB14_5:                               ;   in Loop: Header=BB14_3 Depth=1
	s_or_b64 exec, exec, s[20:21]
	s_add_i32 s0, s2, 1
	s_cmp_lt_u32 s0, s9
	s_cselect_b64 s[0:1], -1, 0
	s_and_b64 s[20:21], vcc, s[0:1]
	s_and_saveexec_b64 s[22:23], s[20:21]
	s_cbranch_execz .LBB14_7
; %bb.6:                                ;   in Loop: Header=BB14_3 Depth=1
	v_mov_b32_e32 v5, s19
	v_add_co_u32_e64 v11, s[0:1], s18, v3
	v_addc_co_u32_e64 v12, s[0:1], v5, v4, s[0:1]
	global_load_ubyte v9, v[11:12], off offset:1
.LBB14_7:                               ;   in Loop: Header=BB14_3 Depth=1
	s_or_b64 exec, exec, s[22:23]
	s_add_i32 s0, s2, 2
	s_cmp_lt_u32 s0, s9
	s_cselect_b64 s[0:1], -1, 0
	s_and_b64 s[22:23], vcc, s[0:1]
	s_and_saveexec_b64 s[24:25], s[22:23]
	s_cbranch_execz .LBB14_9
; %bb.8:                                ;   in Loop: Header=BB14_3 Depth=1
	v_mov_b32_e32 v5, s19
	v_add_co_u32_e64 v11, s[0:1], s18, v3
	v_addc_co_u32_e64 v12, s[0:1], v5, v4, s[0:1]
	global_load_ubyte v8, v[11:12], off offset:2
.LBB14_9:                               ;   in Loop: Header=BB14_3 Depth=1
	s_or_b64 exec, exec, s[24:25]
	s_add_i32 s0, s2, 3
	s_cmp_lt_u32 s0, s9
	s_cselect_b64 s[0:1], -1, 0
	s_and_b64 s[0:1], vcc, s[0:1]
	s_and_saveexec_b64 s[24:25], s[0:1]
	s_cbranch_execz .LBB14_11
; %bb.10:                               ;   in Loop: Header=BB14_3 Depth=1
	v_mov_b32_e32 v5, s19
	v_add_co_u32_e32 v3, vcc, s18, v3
	v_addc_co_u32_e32 v4, vcc, v5, v4, vcc
	global_load_ubyte v7, v[3:4], off offset:3
.LBB14_11:                              ;   in Loop: Header=BB14_3 Depth=1
	s_or_b64 exec, exec, s[24:25]
	s_mul_i32 s24, s37, s26
	s_add_u32 s2, s24, s2
	v_mov_b32_e32 v3, s8
	v_mad_u64_u32 v[3:4], s[24:25], s2, v3, v[1:2]
	s_mul_hi_u32 s2, s37, s26
	s_addc_u32 s2, s2, 0
	s_mul_i32 s2, s2, s8
	v_add_u32_e32 v1, s2, v4
	s_and_saveexec_b64 s[24:25], s[4:5]
	s_cbranch_execnz .LBB14_15
; %bb.12:                               ;   in Loop: Header=BB14_3 Depth=1
	s_or_b64 exec, exec, s[24:25]
	s_and_saveexec_b64 s[4:5], s[20:21]
	s_cbranch_execnz .LBB14_16
.LBB14_13:                              ;   in Loop: Header=BB14_3 Depth=1
	s_or_b64 exec, exec, s[4:5]
	s_and_saveexec_b64 s[4:5], s[22:23]
	s_cbranch_execnz .LBB14_17
.LBB14_14:                              ;   in Loop: Header=BB14_3 Depth=1
	s_or_b64 exec, exec, s[4:5]
	s_and_saveexec_b64 s[4:5], s[0:1]
	s_cbranch_execz .LBB14_2
	s_branch .LBB14_18
.LBB14_15:                              ;   in Loop: Header=BB14_3 Depth=1
	v_mov_b32_e32 v5, s17
	v_add_co_u32_e32 v4, vcc, s16, v3
	v_addc_co_u32_e32 v5, vcc, v5, v1, vcc
	s_waitcnt vmcnt(0)
	global_store_byte v[4:5], v10, off
	s_or_b64 exec, exec, s[24:25]
	s_and_saveexec_b64 s[4:5], s[20:21]
	s_cbranch_execz .LBB14_13
.LBB14_16:                              ;   in Loop: Header=BB14_3 Depth=1
	v_mov_b32_e32 v5, s28
	v_add_co_u32_e32 v4, vcc, s27, v3
	v_addc_co_u32_e32 v5, vcc, v5, v1, vcc
	s_waitcnt vmcnt(0)
	global_store_byte v[4:5], v9, off
	s_or_b64 exec, exec, s[4:5]
	s_and_saveexec_b64 s[4:5], s[22:23]
	s_cbranch_execz .LBB14_14
.LBB14_17:                              ;   in Loop: Header=BB14_3 Depth=1
	v_mov_b32_e32 v5, s30
	v_add_co_u32_e32 v4, vcc, s29, v3
	v_addc_co_u32_e32 v5, vcc, v5, v1, vcc
	s_waitcnt vmcnt(0)
	global_store_byte v[4:5], v8, off
	s_or_b64 exec, exec, s[4:5]
	s_and_saveexec_b64 s[4:5], s[0:1]
	s_cbranch_execz .LBB14_2
.LBB14_18:                              ;   in Loop: Header=BB14_3 Depth=1
	v_mov_b32_e32 v4, s33
	v_add_co_u32_e32 v3, vcc, s31, v3
	v_addc_co_u32_e32 v4, vcc, v4, v1, vcc
	s_waitcnt vmcnt(0)
	global_store_byte v[3:4], v7, off
	s_branch .LBB14_2
.LBB14_19:
	s_endpgm
	.section	.rodata,"a",@progbits
	.p2align	6, 0x0
	.amdhsa_kernel batched_transpose_4x256_byte
		.amdhsa_group_segment_fixed_size 0
		.amdhsa_private_segment_fixed_size 0
		.amdhsa_kernarg_size 48
		.amdhsa_user_sgpr_count 6
		.amdhsa_user_sgpr_private_segment_buffer 1
		.amdhsa_user_sgpr_dispatch_ptr 0
		.amdhsa_user_sgpr_queue_ptr 0
		.amdhsa_user_sgpr_kernarg_segment_ptr 1
		.amdhsa_user_sgpr_dispatch_id 0
		.amdhsa_user_sgpr_flat_scratch_init 0
		.amdhsa_user_sgpr_private_segment_size 0
		.amdhsa_uses_dynamic_stack 0
		.amdhsa_system_sgpr_private_segment_wavefront_offset 0
		.amdhsa_system_sgpr_workgroup_id_x 1
		.amdhsa_system_sgpr_workgroup_id_y 0
		.amdhsa_system_sgpr_workgroup_id_z 0
		.amdhsa_system_sgpr_workgroup_info 0
		.amdhsa_system_vgpr_workitem_id 0
		.amdhsa_next_free_vgpr 13
		.amdhsa_next_free_sgpr 38
		.amdhsa_reserve_vcc 1
		.amdhsa_reserve_flat_scratch 0
		.amdhsa_float_round_mode_32 0
		.amdhsa_float_round_mode_16_64 0
		.amdhsa_float_denorm_mode_32 3
		.amdhsa_float_denorm_mode_16_64 3
		.amdhsa_dx10_clamp 1
		.amdhsa_ieee_mode 1
		.amdhsa_fp16_overflow 0
		.amdhsa_exception_fp_ieee_invalid_op 0
		.amdhsa_exception_fp_denorm_src 0
		.amdhsa_exception_fp_ieee_div_zero 0
		.amdhsa_exception_fp_ieee_overflow 0
		.amdhsa_exception_fp_ieee_underflow 0
		.amdhsa_exception_fp_ieee_inexact 0
		.amdhsa_exception_int_div_zero 0
	.end_amdhsa_kernel
	.text
.Lfunc_end14:
	.size	batched_transpose_4x256_byte, .Lfunc_end14-batched_transpose_4x256_byte
                                        ; -- End function
	.set batched_transpose_4x256_byte.num_vgpr, 13
	.set batched_transpose_4x256_byte.num_agpr, 0
	.set batched_transpose_4x256_byte.numbered_sgpr, 38
	.set batched_transpose_4x256_byte.num_named_barrier, 0
	.set batched_transpose_4x256_byte.private_seg_size, 0
	.set batched_transpose_4x256_byte.uses_vcc, 1
	.set batched_transpose_4x256_byte.uses_flat_scratch, 0
	.set batched_transpose_4x256_byte.has_dyn_sized_stack, 0
	.set batched_transpose_4x256_byte.has_recursion, 0
	.set batched_transpose_4x256_byte.has_indirect_call, 0
	.section	.AMDGPU.csdata,"",@progbits
; Kernel info:
; codeLenInByte = 660
; TotalNumSgprs: 42
; NumVgprs: 13
; ScratchSize: 0
; MemoryBound: 0
; FloatMode: 240
; IeeeMode: 1
; LDSByteSize: 0 bytes/workgroup (compile time only)
; SGPRBlocks: 5
; VGPRBlocks: 3
; NumSGPRsForWavesPerEU: 42
; NumVGPRsForWavesPerEU: 13
; Occupancy: 10
; WaveLimiterHint : 0
; COMPUTE_PGM_RSRC2:SCRATCH_EN: 0
; COMPUTE_PGM_RSRC2:USER_SGPR: 6
; COMPUTE_PGM_RSRC2:TRAP_HANDLER: 0
; COMPUTE_PGM_RSRC2:TGID_X_EN: 1
; COMPUTE_PGM_RSRC2:TGID_Y_EN: 0
; COMPUTE_PGM_RSRC2:TGID_Z_EN: 0
; COMPUTE_PGM_RSRC2:TIDIG_COMP_CNT: 0
	.text
	.protected	batched_transpose_256x4_dword ; -- Begin function batched_transpose_256x4_dword
	.globl	batched_transpose_256x4_dword
	.p2align	8
	.type	batched_transpose_256x4_dword,@function
batched_transpose_256x4_dword:          ; @batched_transpose_256x4_dword
; %bb.0:
	s_load_dwordx8 s[8:15], s[4:5], 0x10
	s_waitcnt lgkmcnt(0)
	s_cmp_ge_u32 s6, s11
	s_cbranch_scc1 .LBB15_19
; %bb.1:
	s_load_dwordx4 s[16:19], s[4:5], 0x0
	s_mov_b32 s3, 0
	s_add_i32 s0, s8, 3
	s_mov_b32 s4, s9
	s_mov_b32 s5, s3
	s_lshr_b32 s7, s0, 2
	s_add_i32 s20, s9, 0xff
	s_lshl_b64 s[0:1], s[4:5], 2
	s_waitcnt lgkmcnt(0)
	s_add_u32 s5, s18, s0
	s_addc_u32 s28, s19, s1
	s_lshl_b32 s2, s9, 1
	s_lshl_b64 s[0:1], s[2:3], 2
	s_add_u32 s29, s18, s0
	s_mul_i32 s2, s9, 3
	s_addc_u32 s30, s19, s1
	s_lshl_b64 s[0:1], s[2:3], 2
	s_add_u32 s31, s18, s0
	s_addc_u32 s33, s19, s1
	s_and_b32 s0, s20, 0xffffff00
	s_sub_i32 s34, 0, s0
	v_lshl_or_b32 v4, s6, 8, v0
	s_lshl_b32 s35, s10, 8
	v_mov_b32_e32 v1, 0
	v_mov_b32_e32 v5, s9
                                        ; implicit-def: $vgpr6
                                        ; implicit-def: $vgpr7
                                        ; implicit-def: $vgpr8
                                        ; implicit-def: $vgpr9
	s_branch .LBB15_3
.LBB15_2:                               ;   in Loop: Header=BB15_3 Depth=1
	s_or_b64 exec, exec, s[20:21]
	s_add_i32 s6, s6, s10
	s_cmp_lt_u32 s6, s11
	v_add_u32_e32 v4, s35, v4
	s_cbranch_scc0 .LBB15_19
.LBB15_3:                               ; =>This Inner Loop Header: Depth=1
	s_mul_hi_u32 s0, s14, s6
	s_add_i32 s0, s6, s0
	s_lshr_b32 s0, s0, s15
	s_mul_hi_u32 s1, s0, s12
	s_add_i32 s1, s0, s1
	s_lshr_b32 s36, s1, s13
	s_mul_i32 s1, s36, s7
	s_sub_i32 s1, s0, s1
	s_mul_i32 s0, s34, s0
	v_add_u32_e32 v0, s0, v4
	s_lshl_b32 s2, s1, 2
	s_mul_i32 s0, s36, s8
	s_add_u32 s0, s0, s2
	v_mad_u64_u32 v[2:3], s[0:1], s0, v5, v[0:1]
	s_mul_hi_u32 s0, s36, s8
	s_addc_u32 s0, s0, 0
	s_mul_i32 s0, s0, s4
	v_add_u32_e32 v3, s0, v3
	s_cmp_lt_u32 s2, s8
	s_cselect_b64 s[0:1], -1, 0
	v_cmp_gt_u32_e32 vcc, s9, v0
	v_lshlrev_b64 v[2:3], 2, v[2:3]
	s_and_b64 s[20:21], vcc, s[0:1]
	s_and_saveexec_b64 s[22:23], s[20:21]
	s_cbranch_execz .LBB15_5
; %bb.4:                                ;   in Loop: Header=BB15_3 Depth=1
	v_mov_b32_e32 v10, s19
	s_waitcnt vmcnt(0)
	v_add_co_u32_e64 v9, s[0:1], s18, v2
	v_addc_co_u32_e64 v10, s[0:1], v10, v3, s[0:1]
	global_load_dword v9, v[9:10], off
.LBB15_5:                               ;   in Loop: Header=BB15_3 Depth=1
	s_or_b64 exec, exec, s[22:23]
	s_or_b32 s0, s2, 1
	s_cmp_lt_u32 s0, s8
	s_cselect_b64 s[0:1], -1, 0
	s_and_b64 s[22:23], vcc, s[0:1]
	s_and_saveexec_b64 s[24:25], s[22:23]
	s_cbranch_execz .LBB15_7
; %bb.6:                                ;   in Loop: Header=BB15_3 Depth=1
	s_waitcnt vmcnt(0)
	v_mov_b32_e32 v8, s28
	v_add_co_u32_e64 v10, s[0:1], s5, v2
	v_addc_co_u32_e64 v11, s[0:1], v8, v3, s[0:1]
	global_load_dword v8, v[10:11], off
.LBB15_7:                               ;   in Loop: Header=BB15_3 Depth=1
	s_or_b64 exec, exec, s[24:25]
	s_or_b32 s0, s2, 2
	s_cmp_lt_u32 s0, s8
	s_cselect_b64 s[0:1], -1, 0
	s_and_b64 s[24:25], vcc, s[0:1]
	s_and_saveexec_b64 s[26:27], s[24:25]
	s_cbranch_execz .LBB15_9
; %bb.8:                                ;   in Loop: Header=BB15_3 Depth=1
	s_waitcnt vmcnt(0)
	v_mov_b32_e32 v7, s30
	v_add_co_u32_e64 v10, s[0:1], s29, v2
	v_addc_co_u32_e64 v11, s[0:1], v7, v3, s[0:1]
	global_load_dword v7, v[10:11], off
.LBB15_9:                               ;   in Loop: Header=BB15_3 Depth=1
	s_or_b64 exec, exec, s[26:27]
	s_or_b32 s0, s2, 3
	s_cmp_lt_u32 s0, s8
	s_cselect_b64 s[0:1], -1, 0
	s_and_b64 s[0:1], vcc, s[0:1]
	s_and_saveexec_b64 s[26:27], s[0:1]
	s_cbranch_execz .LBB15_11
; %bb.10:                               ;   in Loop: Header=BB15_3 Depth=1
	s_waitcnt vmcnt(0)
	v_mov_b32_e32 v6, s33
	v_add_co_u32_e32 v2, vcc, s31, v2
	v_addc_co_u32_e32 v3, vcc, v6, v3, vcc
	global_load_dword v6, v[2:3], off
.LBB15_11:                              ;   in Loop: Header=BB15_3 Depth=1
	s_or_b64 exec, exec, s[26:27]
	v_mov_b32_e32 v2, s4
	v_mad_u64_u32 v[2:3], s[26:27], s36, v2, v[0:1]
	v_mov_b32_e32 v11, s3
	v_mov_b32_e32 v10, s2
	v_mad_u64_u32 v[10:11], s[26:27], v2, s8, v[10:11]
	v_mov_b32_e32 v0, v11
	v_mad_u64_u32 v[2:3], s[26:27], v3, s8, v[0:1]
	v_mov_b32_e32 v11, v2
	v_lshlrev_b64 v[2:3], 2, v[10:11]
	s_and_saveexec_b64 s[26:27], s[20:21]
	s_cbranch_execnz .LBB15_15
; %bb.12:                               ;   in Loop: Header=BB15_3 Depth=1
	s_or_b64 exec, exec, s[26:27]
	s_and_saveexec_b64 s[20:21], s[22:23]
	s_cbranch_execnz .LBB15_16
.LBB15_13:                              ;   in Loop: Header=BB15_3 Depth=1
	s_or_b64 exec, exec, s[20:21]
	s_and_saveexec_b64 s[20:21], s[24:25]
	s_cbranch_execnz .LBB15_17
.LBB15_14:                              ;   in Loop: Header=BB15_3 Depth=1
	s_or_b64 exec, exec, s[20:21]
	s_and_saveexec_b64 s[20:21], s[0:1]
	s_cbranch_execz .LBB15_2
	s_branch .LBB15_18
.LBB15_15:                              ;   in Loop: Header=BB15_3 Depth=1
	v_mov_b32_e32 v0, s17
	v_add_co_u32_e32 v10, vcc, s16, v2
	v_addc_co_u32_e32 v11, vcc, v0, v3, vcc
	s_waitcnt vmcnt(0)
	global_store_dword v[10:11], v9, off
	s_or_b64 exec, exec, s[26:27]
	s_and_saveexec_b64 s[20:21], s[22:23]
	s_cbranch_execz .LBB15_13
.LBB15_16:                              ;   in Loop: Header=BB15_3 Depth=1
	v_mov_b32_e32 v0, s17
	v_add_co_u32_e32 v10, vcc, s16, v2
	v_addc_co_u32_e32 v11, vcc, v0, v3, vcc
	s_waitcnt vmcnt(0)
	global_store_dword v[10:11], v8, off offset:4
	s_or_b64 exec, exec, s[20:21]
	s_and_saveexec_b64 s[20:21], s[24:25]
	s_cbranch_execz .LBB15_14
.LBB15_17:                              ;   in Loop: Header=BB15_3 Depth=1
	v_mov_b32_e32 v0, s17
	v_add_co_u32_e32 v10, vcc, s16, v2
	v_addc_co_u32_e32 v11, vcc, v0, v3, vcc
	s_waitcnt vmcnt(0)
	global_store_dword v[10:11], v7, off offset:8
	s_or_b64 exec, exec, s[20:21]
	s_and_saveexec_b64 s[20:21], s[0:1]
	s_cbranch_execz .LBB15_2
.LBB15_18:                              ;   in Loop: Header=BB15_3 Depth=1
	v_mov_b32_e32 v0, s17
	v_add_co_u32_e32 v2, vcc, s16, v2
	v_addc_co_u32_e32 v3, vcc, v0, v3, vcc
	s_waitcnt vmcnt(0)
	global_store_dword v[2:3], v6, off offset:12
	s_branch .LBB15_2
.LBB15_19:
	s_endpgm
	.section	.rodata,"a",@progbits
	.p2align	6, 0x0
	.amdhsa_kernel batched_transpose_256x4_dword
		.amdhsa_group_segment_fixed_size 0
		.amdhsa_private_segment_fixed_size 0
		.amdhsa_kernarg_size 48
		.amdhsa_user_sgpr_count 6
		.amdhsa_user_sgpr_private_segment_buffer 1
		.amdhsa_user_sgpr_dispatch_ptr 0
		.amdhsa_user_sgpr_queue_ptr 0
		.amdhsa_user_sgpr_kernarg_segment_ptr 1
		.amdhsa_user_sgpr_dispatch_id 0
		.amdhsa_user_sgpr_flat_scratch_init 0
		.amdhsa_user_sgpr_private_segment_size 0
		.amdhsa_uses_dynamic_stack 0
		.amdhsa_system_sgpr_private_segment_wavefront_offset 0
		.amdhsa_system_sgpr_workgroup_id_x 1
		.amdhsa_system_sgpr_workgroup_id_y 0
		.amdhsa_system_sgpr_workgroup_id_z 0
		.amdhsa_system_sgpr_workgroup_info 0
		.amdhsa_system_vgpr_workitem_id 0
		.amdhsa_next_free_vgpr 12
		.amdhsa_next_free_sgpr 37
		.amdhsa_reserve_vcc 1
		.amdhsa_reserve_flat_scratch 0
		.amdhsa_float_round_mode_32 0
		.amdhsa_float_round_mode_16_64 0
		.amdhsa_float_denorm_mode_32 3
		.amdhsa_float_denorm_mode_16_64 3
		.amdhsa_dx10_clamp 1
		.amdhsa_ieee_mode 1
		.amdhsa_fp16_overflow 0
		.amdhsa_exception_fp_ieee_invalid_op 0
		.amdhsa_exception_fp_denorm_src 0
		.amdhsa_exception_fp_ieee_div_zero 0
		.amdhsa_exception_fp_ieee_overflow 0
		.amdhsa_exception_fp_ieee_underflow 0
		.amdhsa_exception_fp_ieee_inexact 0
		.amdhsa_exception_int_div_zero 0
	.end_amdhsa_kernel
	.text
.Lfunc_end15:
	.size	batched_transpose_256x4_dword, .Lfunc_end15-batched_transpose_256x4_dword
                                        ; -- End function
	.set batched_transpose_256x4_dword.num_vgpr, 12
	.set batched_transpose_256x4_dword.num_agpr, 0
	.set batched_transpose_256x4_dword.numbered_sgpr, 37
	.set batched_transpose_256x4_dword.num_named_barrier, 0
	.set batched_transpose_256x4_dword.private_seg_size, 0
	.set batched_transpose_256x4_dword.uses_vcc, 1
	.set batched_transpose_256x4_dword.uses_flat_scratch, 0
	.set batched_transpose_256x4_dword.has_dyn_sized_stack, 0
	.set batched_transpose_256x4_dword.has_recursion, 0
	.set batched_transpose_256x4_dword.has_indirect_call, 0
	.section	.AMDGPU.csdata,"",@progbits
; Kernel info:
; codeLenInByte = 716
; TotalNumSgprs: 41
; NumVgprs: 12
; ScratchSize: 0
; MemoryBound: 0
; FloatMode: 240
; IeeeMode: 1
; LDSByteSize: 0 bytes/workgroup (compile time only)
; SGPRBlocks: 5
; VGPRBlocks: 2
; NumSGPRsForWavesPerEU: 41
; NumVGPRsForWavesPerEU: 12
; Occupancy: 10
; WaveLimiterHint : 0
; COMPUTE_PGM_RSRC2:SCRATCH_EN: 0
; COMPUTE_PGM_RSRC2:USER_SGPR: 6
; COMPUTE_PGM_RSRC2:TRAP_HANDLER: 0
; COMPUTE_PGM_RSRC2:TGID_X_EN: 1
; COMPUTE_PGM_RSRC2:TGID_Y_EN: 0
; COMPUTE_PGM_RSRC2:TGID_Z_EN: 0
; COMPUTE_PGM_RSRC2:TIDIG_COMP_CNT: 0
	.text
	.protected	batched_transpose_256x4_half ; -- Begin function batched_transpose_256x4_half
	.globl	batched_transpose_256x4_half
	.p2align	8
	.type	batched_transpose_256x4_half,@function
batched_transpose_256x4_half:           ; @batched_transpose_256x4_half
; %bb.0:
	s_load_dwordx8 s[8:15], s[4:5], 0x10
	s_waitcnt lgkmcnt(0)
	s_cmp_ge_u32 s6, s11
	s_cbranch_scc1 .LBB16_19
; %bb.1:
	s_load_dwordx4 s[16:19], s[4:5], 0x0
	s_mov_b32 s3, 0
	s_add_i32 s0, s8, 3
	s_mov_b32 s4, s9
	s_mov_b32 s5, s3
	s_lshr_b32 s7, s0, 2
	s_add_i32 s20, s9, 0xff
	s_lshl_b64 s[0:1], s[4:5], 1
	s_waitcnt lgkmcnt(0)
	s_add_u32 s5, s18, s0
	s_addc_u32 s28, s19, s1
	s_lshl_b32 s2, s9, 1
	s_lshl_b64 s[0:1], s[2:3], 1
	s_add_u32 s29, s18, s0
	s_mul_i32 s2, s9, 3
	s_addc_u32 s30, s19, s1
	s_lshl_b64 s[0:1], s[2:3], 1
	s_add_u32 s31, s18, s0
	s_addc_u32 s33, s19, s1
	s_and_b32 s0, s20, 0xffffff00
	s_sub_i32 s34, 0, s0
	v_lshl_or_b32 v4, s6, 8, v0
	s_lshl_b32 s35, s10, 8
	v_mov_b32_e32 v1, 0
	v_mov_b32_e32 v5, s9
                                        ; implicit-def: $vgpr6
                                        ; implicit-def: $vgpr7
                                        ; implicit-def: $vgpr8
                                        ; implicit-def: $vgpr9
	s_branch .LBB16_3
.LBB16_2:                               ;   in Loop: Header=BB16_3 Depth=1
	s_or_b64 exec, exec, s[20:21]
	s_add_i32 s6, s6, s10
	s_cmp_lt_u32 s6, s11
	v_add_u32_e32 v4, s35, v4
	s_cbranch_scc0 .LBB16_19
.LBB16_3:                               ; =>This Inner Loop Header: Depth=1
	s_mul_hi_u32 s0, s14, s6
	s_add_i32 s0, s6, s0
	s_lshr_b32 s0, s0, s15
	s_mul_hi_u32 s1, s0, s12
	s_add_i32 s1, s0, s1
	s_lshr_b32 s36, s1, s13
	s_mul_i32 s1, s36, s7
	s_sub_i32 s1, s0, s1
	s_mul_i32 s0, s34, s0
	v_add_u32_e32 v0, s0, v4
	s_lshl_b32 s2, s1, 2
	s_mul_i32 s0, s36, s8
	s_add_u32 s0, s0, s2
	v_mad_u64_u32 v[2:3], s[0:1], s0, v5, v[0:1]
	s_mul_hi_u32 s0, s36, s8
	s_addc_u32 s0, s0, 0
	s_mul_i32 s0, s0, s4
	v_add_u32_e32 v3, s0, v3
	s_cmp_lt_u32 s2, s8
	s_cselect_b64 s[0:1], -1, 0
	v_cmp_gt_u32_e32 vcc, s9, v0
	v_lshlrev_b64 v[2:3], 1, v[2:3]
	s_and_b64 s[20:21], vcc, s[0:1]
	s_and_saveexec_b64 s[22:23], s[20:21]
	s_cbranch_execz .LBB16_5
; %bb.4:                                ;   in Loop: Header=BB16_3 Depth=1
	v_mov_b32_e32 v10, s19
	s_waitcnt vmcnt(0)
	v_add_co_u32_e64 v9, s[0:1], s18, v2
	v_addc_co_u32_e64 v10, s[0:1], v10, v3, s[0:1]
	global_load_ushort v9, v[9:10], off
.LBB16_5:                               ;   in Loop: Header=BB16_3 Depth=1
	s_or_b64 exec, exec, s[22:23]
	s_or_b32 s0, s2, 1
	s_cmp_lt_u32 s0, s8
	s_cselect_b64 s[0:1], -1, 0
	s_and_b64 s[22:23], vcc, s[0:1]
	s_and_saveexec_b64 s[24:25], s[22:23]
	s_cbranch_execz .LBB16_7
; %bb.6:                                ;   in Loop: Header=BB16_3 Depth=1
	s_waitcnt vmcnt(0)
	v_mov_b32_e32 v8, s28
	v_add_co_u32_e64 v10, s[0:1], s5, v2
	v_addc_co_u32_e64 v11, s[0:1], v8, v3, s[0:1]
	global_load_ushort v8, v[10:11], off
.LBB16_7:                               ;   in Loop: Header=BB16_3 Depth=1
	s_or_b64 exec, exec, s[24:25]
	s_or_b32 s0, s2, 2
	s_cmp_lt_u32 s0, s8
	s_cselect_b64 s[0:1], -1, 0
	s_and_b64 s[24:25], vcc, s[0:1]
	s_and_saveexec_b64 s[26:27], s[24:25]
	s_cbranch_execz .LBB16_9
; %bb.8:                                ;   in Loop: Header=BB16_3 Depth=1
	s_waitcnt vmcnt(0)
	v_mov_b32_e32 v7, s30
	v_add_co_u32_e64 v10, s[0:1], s29, v2
	v_addc_co_u32_e64 v11, s[0:1], v7, v3, s[0:1]
	global_load_ushort v7, v[10:11], off
.LBB16_9:                               ;   in Loop: Header=BB16_3 Depth=1
	s_or_b64 exec, exec, s[26:27]
	s_or_b32 s0, s2, 3
	s_cmp_lt_u32 s0, s8
	s_cselect_b64 s[0:1], -1, 0
	s_and_b64 s[0:1], vcc, s[0:1]
	s_and_saveexec_b64 s[26:27], s[0:1]
	s_cbranch_execz .LBB16_11
; %bb.10:                               ;   in Loop: Header=BB16_3 Depth=1
	s_waitcnt vmcnt(0)
	v_mov_b32_e32 v6, s33
	v_add_co_u32_e32 v2, vcc, s31, v2
	v_addc_co_u32_e32 v3, vcc, v6, v3, vcc
	global_load_ushort v6, v[2:3], off
.LBB16_11:                              ;   in Loop: Header=BB16_3 Depth=1
	s_or_b64 exec, exec, s[26:27]
	v_mov_b32_e32 v2, s4
	v_mad_u64_u32 v[2:3], s[26:27], s36, v2, v[0:1]
	v_mov_b32_e32 v11, s3
	v_mov_b32_e32 v10, s2
	v_mad_u64_u32 v[10:11], s[26:27], v2, s8, v[10:11]
	v_mov_b32_e32 v0, v11
	v_mad_u64_u32 v[2:3], s[26:27], v3, s8, v[0:1]
	v_mov_b32_e32 v11, v2
	v_lshlrev_b64 v[2:3], 1, v[10:11]
	s_and_saveexec_b64 s[26:27], s[20:21]
	s_cbranch_execnz .LBB16_15
; %bb.12:                               ;   in Loop: Header=BB16_3 Depth=1
	s_or_b64 exec, exec, s[26:27]
	s_and_saveexec_b64 s[20:21], s[22:23]
	s_cbranch_execnz .LBB16_16
.LBB16_13:                              ;   in Loop: Header=BB16_3 Depth=1
	s_or_b64 exec, exec, s[20:21]
	s_and_saveexec_b64 s[20:21], s[24:25]
	s_cbranch_execnz .LBB16_17
.LBB16_14:                              ;   in Loop: Header=BB16_3 Depth=1
	s_or_b64 exec, exec, s[20:21]
	s_and_saveexec_b64 s[20:21], s[0:1]
	s_cbranch_execz .LBB16_2
	s_branch .LBB16_18
.LBB16_15:                              ;   in Loop: Header=BB16_3 Depth=1
	v_mov_b32_e32 v0, s17
	v_add_co_u32_e32 v10, vcc, s16, v2
	v_addc_co_u32_e32 v11, vcc, v0, v3, vcc
	s_waitcnt vmcnt(0)
	global_store_short v[10:11], v9, off
	s_or_b64 exec, exec, s[26:27]
	s_and_saveexec_b64 s[20:21], s[22:23]
	s_cbranch_execz .LBB16_13
.LBB16_16:                              ;   in Loop: Header=BB16_3 Depth=1
	v_mov_b32_e32 v0, s17
	v_add_co_u32_e32 v10, vcc, s16, v2
	v_addc_co_u32_e32 v11, vcc, v0, v3, vcc
	s_waitcnt vmcnt(0)
	global_store_short v[10:11], v8, off offset:2
	s_or_b64 exec, exec, s[20:21]
	s_and_saveexec_b64 s[20:21], s[24:25]
	s_cbranch_execz .LBB16_14
.LBB16_17:                              ;   in Loop: Header=BB16_3 Depth=1
	v_mov_b32_e32 v0, s17
	v_add_co_u32_e32 v10, vcc, s16, v2
	v_addc_co_u32_e32 v11, vcc, v0, v3, vcc
	s_waitcnt vmcnt(0)
	global_store_short v[10:11], v7, off offset:4
	s_or_b64 exec, exec, s[20:21]
	s_and_saveexec_b64 s[20:21], s[0:1]
	s_cbranch_execz .LBB16_2
.LBB16_18:                              ;   in Loop: Header=BB16_3 Depth=1
	v_mov_b32_e32 v0, s17
	v_add_co_u32_e32 v2, vcc, s16, v2
	v_addc_co_u32_e32 v3, vcc, v0, v3, vcc
	s_waitcnt vmcnt(0)
	global_store_short v[2:3], v6, off offset:6
	s_branch .LBB16_2
.LBB16_19:
	s_endpgm
	.section	.rodata,"a",@progbits
	.p2align	6, 0x0
	.amdhsa_kernel batched_transpose_256x4_half
		.amdhsa_group_segment_fixed_size 0
		.amdhsa_private_segment_fixed_size 0
		.amdhsa_kernarg_size 48
		.amdhsa_user_sgpr_count 6
		.amdhsa_user_sgpr_private_segment_buffer 1
		.amdhsa_user_sgpr_dispatch_ptr 0
		.amdhsa_user_sgpr_queue_ptr 0
		.amdhsa_user_sgpr_kernarg_segment_ptr 1
		.amdhsa_user_sgpr_dispatch_id 0
		.amdhsa_user_sgpr_flat_scratch_init 0
		.amdhsa_user_sgpr_private_segment_size 0
		.amdhsa_uses_dynamic_stack 0
		.amdhsa_system_sgpr_private_segment_wavefront_offset 0
		.amdhsa_system_sgpr_workgroup_id_x 1
		.amdhsa_system_sgpr_workgroup_id_y 0
		.amdhsa_system_sgpr_workgroup_id_z 0
		.amdhsa_system_sgpr_workgroup_info 0
		.amdhsa_system_vgpr_workitem_id 0
		.amdhsa_next_free_vgpr 12
		.amdhsa_next_free_sgpr 37
		.amdhsa_reserve_vcc 1
		.amdhsa_reserve_flat_scratch 0
		.amdhsa_float_round_mode_32 0
		.amdhsa_float_round_mode_16_64 0
		.amdhsa_float_denorm_mode_32 3
		.amdhsa_float_denorm_mode_16_64 3
		.amdhsa_dx10_clamp 1
		.amdhsa_ieee_mode 1
		.amdhsa_fp16_overflow 0
		.amdhsa_exception_fp_ieee_invalid_op 0
		.amdhsa_exception_fp_denorm_src 0
		.amdhsa_exception_fp_ieee_div_zero 0
		.amdhsa_exception_fp_ieee_overflow 0
		.amdhsa_exception_fp_ieee_underflow 0
		.amdhsa_exception_fp_ieee_inexact 0
		.amdhsa_exception_int_div_zero 0
	.end_amdhsa_kernel
	.text
.Lfunc_end16:
	.size	batched_transpose_256x4_half, .Lfunc_end16-batched_transpose_256x4_half
                                        ; -- End function
	.set batched_transpose_256x4_half.num_vgpr, 12
	.set batched_transpose_256x4_half.num_agpr, 0
	.set batched_transpose_256x4_half.numbered_sgpr, 37
	.set batched_transpose_256x4_half.num_named_barrier, 0
	.set batched_transpose_256x4_half.private_seg_size, 0
	.set batched_transpose_256x4_half.uses_vcc, 1
	.set batched_transpose_256x4_half.uses_flat_scratch, 0
	.set batched_transpose_256x4_half.has_dyn_sized_stack, 0
	.set batched_transpose_256x4_half.has_recursion, 0
	.set batched_transpose_256x4_half.has_indirect_call, 0
	.section	.AMDGPU.csdata,"",@progbits
; Kernel info:
; codeLenInByte = 716
; TotalNumSgprs: 41
; NumVgprs: 12
; ScratchSize: 0
; MemoryBound: 0
; FloatMode: 240
; IeeeMode: 1
; LDSByteSize: 0 bytes/workgroup (compile time only)
; SGPRBlocks: 5
; VGPRBlocks: 2
; NumSGPRsForWavesPerEU: 41
; NumVGPRsForWavesPerEU: 12
; Occupancy: 10
; WaveLimiterHint : 0
; COMPUTE_PGM_RSRC2:SCRATCH_EN: 0
; COMPUTE_PGM_RSRC2:USER_SGPR: 6
; COMPUTE_PGM_RSRC2:TRAP_HANDLER: 0
; COMPUTE_PGM_RSRC2:TGID_X_EN: 1
; COMPUTE_PGM_RSRC2:TGID_Y_EN: 0
; COMPUTE_PGM_RSRC2:TGID_Z_EN: 0
; COMPUTE_PGM_RSRC2:TIDIG_COMP_CNT: 0
	.text
	.protected	batched_transpose_256x4_byte ; -- Begin function batched_transpose_256x4_byte
	.globl	batched_transpose_256x4_byte
	.p2align	8
	.type	batched_transpose_256x4_byte,@function
batched_transpose_256x4_byte:           ; @batched_transpose_256x4_byte
; %bb.0:
	s_load_dwordx8 s[8:15], s[4:5], 0x10
	s_waitcnt lgkmcnt(0)
	s_cmp_ge_u32 s6, s11
	s_cbranch_scc1 .LBB17_19
; %bb.1:
	s_load_dwordx4 s[16:19], s[4:5], 0x0
	s_add_i32 s0, s8, 3
	s_lshr_b32 s7, s0, 2
	s_add_i32 s0, s9, 0xff
	s_mov_b32 s3, 0
	s_waitcnt lgkmcnt(0)
	s_add_u32 s27, s18, s9
	s_addc_u32 s28, s19, 0
	s_lshl_b32 s1, s9, 1
	s_add_u32 s29, s18, s1
	s_addc_u32 s30, s19, 0
	s_mul_i32 s1, s9, 3
	s_add_u32 s31, s18, s1
	s_addc_u32 s33, s19, 0
	s_and_b32 s0, s0, 0xffffff00
	s_mov_b32 s26, s9
	s_sub_i32 s34, 0, s0
	v_lshl_or_b32 v5, s6, 8, v0
	s_lshl_b32 s35, s10, 8
	v_mov_b32_e32 v1, 0
	v_mov_b32_e32 v6, s9
                                        ; implicit-def: $vgpr7
                                        ; implicit-def: $vgpr8
                                        ; implicit-def: $vgpr9
                                        ; implicit-def: $vgpr10
	s_branch .LBB17_3
.LBB17_2:                               ;   in Loop: Header=BB17_3 Depth=1
	s_or_b64 exec, exec, s[4:5]
	s_add_i32 s6, s6, s10
	s_cmp_lt_u32 s6, s11
	v_add_u32_e32 v5, s35, v5
	s_cbranch_scc0 .LBB17_19
.LBB17_3:                               ; =>This Inner Loop Header: Depth=1
	s_mul_hi_u32 s0, s14, s6
	s_add_i32 s0, s6, s0
	s_lshr_b32 s0, s0, s15
	s_mul_hi_u32 s1, s0, s12
	s_add_i32 s1, s0, s1
	s_lshr_b32 s36, s1, s13
	s_mul_i32 s1, s36, s7
	s_sub_i32 s1, s0, s1
	s_mul_i32 s0, s34, s0
	v_add_u32_e32 v0, s0, v5
	s_lshl_b32 s2, s1, 2
	s_mul_i32 s0, s36, s8
	s_add_u32 s0, s0, s2
	v_mad_u64_u32 v[2:3], s[0:1], s0, v6, v[0:1]
	s_mul_hi_u32 s0, s36, s8
	s_addc_u32 s0, s0, 0
	s_mul_i32 s0, s0, s26
	s_cmp_lt_u32 s2, s8
	v_add_u32_e32 v3, s0, v3
	s_cselect_b64 s[0:1], -1, 0
	v_cmp_gt_u32_e32 vcc, s9, v0
	s_and_b64 s[4:5], vcc, s[0:1]
	s_and_saveexec_b64 s[20:21], s[4:5]
	s_cbranch_execz .LBB17_5
; %bb.4:                                ;   in Loop: Header=BB17_3 Depth=1
	v_mov_b32_e32 v4, s19
	s_waitcnt vmcnt(0)
	v_add_co_u32_e64 v10, s[0:1], s18, v2
	v_addc_co_u32_e64 v11, s[0:1], v4, v3, s[0:1]
	global_load_ubyte v10, v[10:11], off
.LBB17_5:                               ;   in Loop: Header=BB17_3 Depth=1
	s_or_b64 exec, exec, s[20:21]
	s_or_b32 s0, s2, 1
	s_cmp_lt_u32 s0, s8
	s_cselect_b64 s[0:1], -1, 0
	s_and_b64 s[20:21], vcc, s[0:1]
	s_and_saveexec_b64 s[22:23], s[20:21]
	s_cbranch_execz .LBB17_7
; %bb.6:                                ;   in Loop: Header=BB17_3 Depth=1
	v_mov_b32_e32 v4, s28
	v_add_co_u32_e64 v11, s[0:1], s27, v2
	v_addc_co_u32_e64 v12, s[0:1], v4, v3, s[0:1]
	global_load_ubyte v9, v[11:12], off
.LBB17_7:                               ;   in Loop: Header=BB17_3 Depth=1
	s_or_b64 exec, exec, s[22:23]
	s_or_b32 s0, s2, 2
	s_cmp_lt_u32 s0, s8
	s_cselect_b64 s[0:1], -1, 0
	s_and_b64 s[22:23], vcc, s[0:1]
	s_and_saveexec_b64 s[24:25], s[22:23]
	s_cbranch_execz .LBB17_9
; %bb.8:                                ;   in Loop: Header=BB17_3 Depth=1
	v_mov_b32_e32 v4, s30
	v_add_co_u32_e64 v11, s[0:1], s29, v2
	v_addc_co_u32_e64 v12, s[0:1], v4, v3, s[0:1]
	global_load_ubyte v8, v[11:12], off
.LBB17_9:                               ;   in Loop: Header=BB17_3 Depth=1
	s_or_b64 exec, exec, s[24:25]
	s_or_b32 s0, s2, 3
	s_cmp_lt_u32 s0, s8
	s_cselect_b64 s[0:1], -1, 0
	s_and_b64 s[0:1], vcc, s[0:1]
	s_and_saveexec_b64 s[24:25], s[0:1]
	s_cbranch_execz .LBB17_11
; %bb.10:                               ;   in Loop: Header=BB17_3 Depth=1
	v_mov_b32_e32 v4, s33
	v_add_co_u32_e32 v2, vcc, s31, v2
	v_addc_co_u32_e32 v3, vcc, v4, v3, vcc
	global_load_ubyte v7, v[2:3], off
.LBB17_11:                              ;   in Loop: Header=BB17_3 Depth=1
	s_or_b64 exec, exec, s[24:25]
	v_mov_b32_e32 v2, s26
	v_mad_u64_u32 v[3:4], s[24:25], s36, v2, v[0:1]
	v_mov_b32_e32 v12, s3
	v_mov_b32_e32 v11, s2
	v_mad_u64_u32 v[2:3], s[24:25], v3, s8, v[11:12]
	v_mov_b32_e32 v0, v3
	v_mad_u64_u32 v[3:4], s[24:25], v4, s8, v[0:1]
	s_and_saveexec_b64 s[24:25], s[4:5]
	s_cbranch_execnz .LBB17_15
; %bb.12:                               ;   in Loop: Header=BB17_3 Depth=1
	s_or_b64 exec, exec, s[24:25]
	s_and_saveexec_b64 s[4:5], s[20:21]
	s_cbranch_execnz .LBB17_16
.LBB17_13:                              ;   in Loop: Header=BB17_3 Depth=1
	s_or_b64 exec, exec, s[4:5]
	s_and_saveexec_b64 s[4:5], s[22:23]
	s_cbranch_execnz .LBB17_17
.LBB17_14:                              ;   in Loop: Header=BB17_3 Depth=1
	s_or_b64 exec, exec, s[4:5]
	s_and_saveexec_b64 s[4:5], s[0:1]
	s_cbranch_execz .LBB17_2
	s_branch .LBB17_18
.LBB17_15:                              ;   in Loop: Header=BB17_3 Depth=1
	v_mov_b32_e32 v0, s17
	v_add_co_u32_e32 v11, vcc, s16, v2
	v_addc_co_u32_e32 v12, vcc, v0, v3, vcc
	s_waitcnt vmcnt(0)
	global_store_byte v[11:12], v10, off
	s_or_b64 exec, exec, s[24:25]
	s_and_saveexec_b64 s[4:5], s[20:21]
	s_cbranch_execz .LBB17_13
.LBB17_16:                              ;   in Loop: Header=BB17_3 Depth=1
	v_mov_b32_e32 v0, s17
	v_add_co_u32_e32 v11, vcc, s16, v2
	v_addc_co_u32_e32 v12, vcc, v0, v3, vcc
	s_waitcnt vmcnt(0)
	global_store_byte v[11:12], v9, off offset:1
	s_or_b64 exec, exec, s[4:5]
	s_and_saveexec_b64 s[4:5], s[22:23]
	s_cbranch_execz .LBB17_14
.LBB17_17:                              ;   in Loop: Header=BB17_3 Depth=1
	v_mov_b32_e32 v0, s17
	v_add_co_u32_e32 v11, vcc, s16, v2
	v_addc_co_u32_e32 v12, vcc, v0, v3, vcc
	s_waitcnt vmcnt(0)
	global_store_byte v[11:12], v8, off offset:2
	s_or_b64 exec, exec, s[4:5]
	s_and_saveexec_b64 s[4:5], s[0:1]
	s_cbranch_execz .LBB17_2
.LBB17_18:                              ;   in Loop: Header=BB17_3 Depth=1
	v_mov_b32_e32 v0, s17
	v_add_co_u32_e32 v2, vcc, s16, v2
	v_addc_co_u32_e32 v3, vcc, v0, v3, vcc
	s_waitcnt vmcnt(0)
	global_store_byte v[2:3], v7, off offset:3
	s_branch .LBB17_2
.LBB17_19:
	s_endpgm
	.section	.rodata,"a",@progbits
	.p2align	6, 0x0
	.amdhsa_kernel batched_transpose_256x4_byte
		.amdhsa_group_segment_fixed_size 0
		.amdhsa_private_segment_fixed_size 0
		.amdhsa_kernarg_size 48
		.amdhsa_user_sgpr_count 6
		.amdhsa_user_sgpr_private_segment_buffer 1
		.amdhsa_user_sgpr_dispatch_ptr 0
		.amdhsa_user_sgpr_queue_ptr 0
		.amdhsa_user_sgpr_kernarg_segment_ptr 1
		.amdhsa_user_sgpr_dispatch_id 0
		.amdhsa_user_sgpr_flat_scratch_init 0
		.amdhsa_user_sgpr_private_segment_size 0
		.amdhsa_uses_dynamic_stack 0
		.amdhsa_system_sgpr_private_segment_wavefront_offset 0
		.amdhsa_system_sgpr_workgroup_id_x 1
		.amdhsa_system_sgpr_workgroup_id_y 0
		.amdhsa_system_sgpr_workgroup_id_z 0
		.amdhsa_system_sgpr_workgroup_info 0
		.amdhsa_system_vgpr_workitem_id 0
		.amdhsa_next_free_vgpr 13
		.amdhsa_next_free_sgpr 37
		.amdhsa_reserve_vcc 1
		.amdhsa_reserve_flat_scratch 0
		.amdhsa_float_round_mode_32 0
		.amdhsa_float_round_mode_16_64 0
		.amdhsa_float_denorm_mode_32 3
		.amdhsa_float_denorm_mode_16_64 3
		.amdhsa_dx10_clamp 1
		.amdhsa_ieee_mode 1
		.amdhsa_fp16_overflow 0
		.amdhsa_exception_fp_ieee_invalid_op 0
		.amdhsa_exception_fp_denorm_src 0
		.amdhsa_exception_fp_ieee_div_zero 0
		.amdhsa_exception_fp_ieee_overflow 0
		.amdhsa_exception_fp_ieee_underflow 0
		.amdhsa_exception_fp_ieee_inexact 0
		.amdhsa_exception_int_div_zero 0
	.end_amdhsa_kernel
	.text
.Lfunc_end17:
	.size	batched_transpose_256x4_byte, .Lfunc_end17-batched_transpose_256x4_byte
                                        ; -- End function
	.set batched_transpose_256x4_byte.num_vgpr, 13
	.set batched_transpose_256x4_byte.num_agpr, 0
	.set batched_transpose_256x4_byte.numbered_sgpr, 37
	.set batched_transpose_256x4_byte.num_named_barrier, 0
	.set batched_transpose_256x4_byte.private_seg_size, 0
	.set batched_transpose_256x4_byte.uses_vcc, 1
	.set batched_transpose_256x4_byte.uses_flat_scratch, 0
	.set batched_transpose_256x4_byte.has_dyn_sized_stack, 0
	.set batched_transpose_256x4_byte.has_recursion, 0
	.set batched_transpose_256x4_byte.has_indirect_call, 0
	.section	.AMDGPU.csdata,"",@progbits
; Kernel info:
; codeLenInByte = 668
; TotalNumSgprs: 41
; NumVgprs: 13
; ScratchSize: 0
; MemoryBound: 0
; FloatMode: 240
; IeeeMode: 1
; LDSByteSize: 0 bytes/workgroup (compile time only)
; SGPRBlocks: 5
; VGPRBlocks: 3
; NumSGPRsForWavesPerEU: 41
; NumVGPRsForWavesPerEU: 13
; Occupancy: 10
; WaveLimiterHint : 0
; COMPUTE_PGM_RSRC2:SCRATCH_EN: 0
; COMPUTE_PGM_RSRC2:USER_SGPR: 6
; COMPUTE_PGM_RSRC2:TRAP_HANDLER: 0
; COMPUTE_PGM_RSRC2:TGID_X_EN: 1
; COMPUTE_PGM_RSRC2:TGID_Y_EN: 0
; COMPUTE_PGM_RSRC2:TGID_Z_EN: 0
; COMPUTE_PGM_RSRC2:TIDIG_COMP_CNT: 0
	.text
	.protected	batched_transpose_4x128_dword ; -- Begin function batched_transpose_4x128_dword
	.globl	batched_transpose_4x128_dword
	.p2align	8
	.type	batched_transpose_4x128_dword,@function
batched_transpose_4x128_dword:          ; @batched_transpose_4x128_dword
; %bb.0:
	s_load_dwordx8 s[8:15], s[4:5], 0x10
	s_waitcnt lgkmcnt(0)
	s_cmp_ge_u32 s6, s11
	s_cbranch_scc1 .LBB18_11
; %bb.1:
	s_load_dwordx4 s[16:19], s[4:5], 0x0
	s_add_i32 s0, s8, 0x7f
	s_lshr_b32 s7, s0, 7
	s_mov_b32 s1, 0
	s_lshl_b32 s0, s8, 1
	s_add_i32 s2, s9, 3
	s_lshl_b64 s[0:1], s[0:1], 2
	s_waitcnt lgkmcnt(0)
	s_add_u32 s21, s16, s0
	v_lshrrev_b32_e32 v1, 7, v0
	s_addc_u32 s22, s17, s1
	s_and_b32 s0, s2, -4
	v_and_b32_e32 v6, 0x7f, v0
	s_mov_b32 s20, s9
	s_sub_i32 s23, 0, s0
	v_lshl_or_b32 v7, s6, 2, v1
	s_lshl_b32 s24, s10, 2
	v_mov_b32_e32 v1, 0
	v_mov_b32_e32 v8, s8
                                        ; implicit-def: $vgpr9
                                        ; implicit-def: $vgpr10
	s_branch .LBB18_3
.LBB18_2:                               ;   in Loop: Header=BB18_3 Depth=1
	s_or_b64 exec, exec, s[2:3]
	s_add_i32 s6, s6, s10
	s_cmp_lt_u32 s6, s11
	v_add_u32_e32 v7, s24, v7
	s_cbranch_scc0 .LBB18_11
.LBB18_3:                               ; =>This Inner Loop Header: Depth=1
	s_mul_hi_u32 s0, s14, s6
	s_add_i32 s0, s6, s0
	s_lshr_b32 s0, s0, s15
	s_mul_hi_u32 s1, s0, s12
	s_add_i32 s1, s0, s1
	s_lshr_b32 s25, s1, s13
	s_mul_i32 s1, s25, s7
	s_sub_i32 s1, s0, s1
	v_lshl_or_b32 v0, s1, 7, v6
	s_mul_i32 s2, s23, s0
	v_mad_u64_u32 v[4:5], s[0:1], s25, v8, v[0:1]
	v_add_u32_e32 v2, s2, v7
	v_mov_b32_e32 v3, v1
	v_mad_u64_u32 v[11:12], s[0:1], v4, s20, v[2:3]
	v_cmp_gt_u32_e32 vcc, s8, v0
	v_mov_b32_e32 v4, v12
	v_mad_u64_u32 v[4:5], s[0:1], v5, s20, v[4:5]
	v_cmp_gt_u32_e64 s[0:1], s9, v2
	s_and_b64 s[2:3], s[0:1], vcc
	v_mov_b32_e32 v12, v4
	v_lshlrev_b64 v[4:5], 2, v[11:12]
	s_and_saveexec_b64 s[4:5], s[2:3]
	s_cbranch_execz .LBB18_5
; %bb.4:                                ;   in Loop: Header=BB18_3 Depth=1
	v_mov_b32_e32 v11, s19
	s_waitcnt vmcnt(0)
	v_add_co_u32_e64 v10, s[0:1], s18, v4
	v_addc_co_u32_e64 v11, s[0:1], v11, v5, s[0:1]
	global_load_dword v10, v[10:11], off
.LBB18_5:                               ;   in Loop: Header=BB18_3 Depth=1
	s_or_b64 exec, exec, s[4:5]
	v_add_u32_e32 v11, 2, v2
	v_cmp_gt_u32_e64 s[0:1], s9, v11
	s_and_b64 s[0:1], s[0:1], vcc
	s_and_saveexec_b64 s[4:5], s[0:1]
	s_cbranch_execz .LBB18_7
; %bb.6:                                ;   in Loop: Header=BB18_3 Depth=1
	s_waitcnt vmcnt(0)
	v_mov_b32_e32 v9, s19
	v_add_co_u32_e32 v4, vcc, s18, v4
	v_addc_co_u32_e32 v5, vcc, v9, v5, vcc
	global_load_dword v9, v[4:5], off offset:8
.LBB18_7:                               ;   in Loop: Header=BB18_3 Depth=1
	s_or_b64 exec, exec, s[4:5]
	v_mov_b32_e32 v4, s20
	v_mad_u64_u32 v[2:3], s[4:5], s25, v4, v[2:3]
	v_mad_u64_u32 v[4:5], s[4:5], v2, s8, v[0:1]
	v_mov_b32_e32 v0, v5
	v_mad_u64_u32 v[2:3], s[4:5], v3, s8, v[0:1]
	v_mov_b32_e32 v5, v2
	v_lshlrev_b64 v[2:3], 2, v[4:5]
	s_and_saveexec_b64 s[4:5], s[2:3]
	s_cbranch_execz .LBB18_9
; %bb.8:                                ;   in Loop: Header=BB18_3 Depth=1
	v_mov_b32_e32 v0, s17
	v_add_co_u32_e32 v4, vcc, s16, v2
	v_addc_co_u32_e32 v5, vcc, v0, v3, vcc
	s_waitcnt vmcnt(0)
	global_store_dword v[4:5], v10, off
.LBB18_9:                               ;   in Loop: Header=BB18_3 Depth=1
	s_or_b64 exec, exec, s[4:5]
	s_and_saveexec_b64 s[2:3], s[0:1]
	s_cbranch_execz .LBB18_2
; %bb.10:                               ;   in Loop: Header=BB18_3 Depth=1
	v_mov_b32_e32 v0, s22
	v_add_co_u32_e32 v2, vcc, s21, v2
	v_addc_co_u32_e32 v3, vcc, v0, v3, vcc
	s_waitcnt vmcnt(0)
	global_store_dword v[2:3], v9, off
	s_branch .LBB18_2
.LBB18_11:
	s_endpgm
	.section	.rodata,"a",@progbits
	.p2align	6, 0x0
	.amdhsa_kernel batched_transpose_4x128_dword
		.amdhsa_group_segment_fixed_size 0
		.amdhsa_private_segment_fixed_size 0
		.amdhsa_kernarg_size 48
		.amdhsa_user_sgpr_count 6
		.amdhsa_user_sgpr_private_segment_buffer 1
		.amdhsa_user_sgpr_dispatch_ptr 0
		.amdhsa_user_sgpr_queue_ptr 0
		.amdhsa_user_sgpr_kernarg_segment_ptr 1
		.amdhsa_user_sgpr_dispatch_id 0
		.amdhsa_user_sgpr_flat_scratch_init 0
		.amdhsa_user_sgpr_private_segment_size 0
		.amdhsa_uses_dynamic_stack 0
		.amdhsa_system_sgpr_private_segment_wavefront_offset 0
		.amdhsa_system_sgpr_workgroup_id_x 1
		.amdhsa_system_sgpr_workgroup_id_y 0
		.amdhsa_system_sgpr_workgroup_id_z 0
		.amdhsa_system_sgpr_workgroup_info 0
		.amdhsa_system_vgpr_workitem_id 0
		.amdhsa_next_free_vgpr 13
		.amdhsa_next_free_sgpr 26
		.amdhsa_reserve_vcc 1
		.amdhsa_reserve_flat_scratch 0
		.amdhsa_float_round_mode_32 0
		.amdhsa_float_round_mode_16_64 0
		.amdhsa_float_denorm_mode_32 3
		.amdhsa_float_denorm_mode_16_64 3
		.amdhsa_dx10_clamp 1
		.amdhsa_ieee_mode 1
		.amdhsa_fp16_overflow 0
		.amdhsa_exception_fp_ieee_invalid_op 0
		.amdhsa_exception_fp_denorm_src 0
		.amdhsa_exception_fp_ieee_div_zero 0
		.amdhsa_exception_fp_ieee_overflow 0
		.amdhsa_exception_fp_ieee_underflow 0
		.amdhsa_exception_fp_ieee_inexact 0
		.amdhsa_exception_int_div_zero 0
	.end_amdhsa_kernel
	.text
.Lfunc_end18:
	.size	batched_transpose_4x128_dword, .Lfunc_end18-batched_transpose_4x128_dword
                                        ; -- End function
	.set batched_transpose_4x128_dword.num_vgpr, 13
	.set batched_transpose_4x128_dword.num_agpr, 0
	.set batched_transpose_4x128_dword.numbered_sgpr, 26
	.set batched_transpose_4x128_dword.num_named_barrier, 0
	.set batched_transpose_4x128_dword.private_seg_size, 0
	.set batched_transpose_4x128_dword.uses_vcc, 1
	.set batched_transpose_4x128_dword.uses_flat_scratch, 0
	.set batched_transpose_4x128_dword.has_dyn_sized_stack, 0
	.set batched_transpose_4x128_dword.has_recursion, 0
	.set batched_transpose_4x128_dword.has_indirect_call, 0
	.section	.AMDGPU.csdata,"",@progbits
; Kernel info:
; codeLenInByte = 460
; TotalNumSgprs: 30
; NumVgprs: 13
; ScratchSize: 0
; MemoryBound: 0
; FloatMode: 240
; IeeeMode: 1
; LDSByteSize: 0 bytes/workgroup (compile time only)
; SGPRBlocks: 3
; VGPRBlocks: 3
; NumSGPRsForWavesPerEU: 30
; NumVGPRsForWavesPerEU: 13
; Occupancy: 10
; WaveLimiterHint : 0
; COMPUTE_PGM_RSRC2:SCRATCH_EN: 0
; COMPUTE_PGM_RSRC2:USER_SGPR: 6
; COMPUTE_PGM_RSRC2:TRAP_HANDLER: 0
; COMPUTE_PGM_RSRC2:TGID_X_EN: 1
; COMPUTE_PGM_RSRC2:TGID_Y_EN: 0
; COMPUTE_PGM_RSRC2:TGID_Z_EN: 0
; COMPUTE_PGM_RSRC2:TIDIG_COMP_CNT: 0
	.text
	.protected	batched_transpose_4x128_half ; -- Begin function batched_transpose_4x128_half
	.globl	batched_transpose_4x128_half
	.p2align	8
	.type	batched_transpose_4x128_half,@function
batched_transpose_4x128_half:           ; @batched_transpose_4x128_half
; %bb.0:
	s_load_dwordx8 s[8:15], s[4:5], 0x10
	s_waitcnt lgkmcnt(0)
	s_cmp_ge_u32 s6, s11
	s_cbranch_scc1 .LBB19_11
; %bb.1:
	s_load_dwordx4 s[16:19], s[4:5], 0x0
	s_add_i32 s0, s8, 0x7f
	s_lshr_b32 s7, s0, 7
	s_mov_b32 s1, 0
	s_lshl_b32 s0, s8, 1
	s_add_i32 s2, s9, 3
	s_lshl_b64 s[0:1], s[0:1], 1
	s_waitcnt lgkmcnt(0)
	s_add_u32 s21, s16, s0
	v_lshrrev_b32_e32 v1, 7, v0
	s_addc_u32 s22, s17, s1
	s_and_b32 s0, s2, -4
	v_and_b32_e32 v6, 0x7f, v0
	s_mov_b32 s20, s9
	s_sub_i32 s23, 0, s0
	v_lshl_or_b32 v7, s6, 2, v1
	s_lshl_b32 s24, s10, 2
	v_mov_b32_e32 v1, 0
	v_mov_b32_e32 v8, s8
                                        ; implicit-def: $vgpr9
                                        ; implicit-def: $vgpr10
	s_branch .LBB19_3
.LBB19_2:                               ;   in Loop: Header=BB19_3 Depth=1
	s_or_b64 exec, exec, s[2:3]
	s_add_i32 s6, s6, s10
	s_cmp_lt_u32 s6, s11
	v_add_u32_e32 v7, s24, v7
	s_cbranch_scc0 .LBB19_11
.LBB19_3:                               ; =>This Inner Loop Header: Depth=1
	s_mul_hi_u32 s0, s14, s6
	s_add_i32 s0, s6, s0
	s_lshr_b32 s0, s0, s15
	s_mul_hi_u32 s1, s0, s12
	s_add_i32 s1, s0, s1
	s_lshr_b32 s25, s1, s13
	s_mul_i32 s1, s25, s7
	s_sub_i32 s1, s0, s1
	v_lshl_or_b32 v0, s1, 7, v6
	s_mul_i32 s2, s23, s0
	v_mad_u64_u32 v[4:5], s[0:1], s25, v8, v[0:1]
	v_add_u32_e32 v2, s2, v7
	v_mov_b32_e32 v3, v1
	v_mad_u64_u32 v[11:12], s[0:1], v4, s20, v[2:3]
	v_cmp_gt_u32_e32 vcc, s8, v0
	v_mov_b32_e32 v4, v12
	v_mad_u64_u32 v[4:5], s[0:1], v5, s20, v[4:5]
	v_cmp_gt_u32_e64 s[0:1], s9, v2
	s_and_b64 s[2:3], s[0:1], vcc
	v_mov_b32_e32 v12, v4
	v_lshlrev_b64 v[4:5], 1, v[11:12]
	s_and_saveexec_b64 s[4:5], s[2:3]
	s_cbranch_execz .LBB19_5
; %bb.4:                                ;   in Loop: Header=BB19_3 Depth=1
	v_mov_b32_e32 v11, s19
	s_waitcnt vmcnt(0)
	v_add_co_u32_e64 v10, s[0:1], s18, v4
	v_addc_co_u32_e64 v11, s[0:1], v11, v5, s[0:1]
	global_load_ushort v10, v[10:11], off
.LBB19_5:                               ;   in Loop: Header=BB19_3 Depth=1
	s_or_b64 exec, exec, s[4:5]
	v_add_u32_e32 v11, 2, v2
	v_cmp_gt_u32_e64 s[0:1], s9, v11
	s_and_b64 s[0:1], s[0:1], vcc
	s_and_saveexec_b64 s[4:5], s[0:1]
	s_cbranch_execz .LBB19_7
; %bb.6:                                ;   in Loop: Header=BB19_3 Depth=1
	s_waitcnt vmcnt(0)
	v_mov_b32_e32 v9, s19
	v_add_co_u32_e32 v4, vcc, s18, v4
	v_addc_co_u32_e32 v5, vcc, v9, v5, vcc
	global_load_ushort v9, v[4:5], off offset:4
.LBB19_7:                               ;   in Loop: Header=BB19_3 Depth=1
	s_or_b64 exec, exec, s[4:5]
	v_mov_b32_e32 v4, s20
	v_mad_u64_u32 v[2:3], s[4:5], s25, v4, v[2:3]
	v_mad_u64_u32 v[4:5], s[4:5], v2, s8, v[0:1]
	v_mov_b32_e32 v0, v5
	v_mad_u64_u32 v[2:3], s[4:5], v3, s8, v[0:1]
	v_mov_b32_e32 v5, v2
	v_lshlrev_b64 v[2:3], 1, v[4:5]
	s_and_saveexec_b64 s[4:5], s[2:3]
	s_cbranch_execz .LBB19_9
; %bb.8:                                ;   in Loop: Header=BB19_3 Depth=1
	v_mov_b32_e32 v0, s17
	v_add_co_u32_e32 v4, vcc, s16, v2
	v_addc_co_u32_e32 v5, vcc, v0, v3, vcc
	s_waitcnt vmcnt(0)
	global_store_short v[4:5], v10, off
.LBB19_9:                               ;   in Loop: Header=BB19_3 Depth=1
	s_or_b64 exec, exec, s[4:5]
	s_and_saveexec_b64 s[2:3], s[0:1]
	s_cbranch_execz .LBB19_2
; %bb.10:                               ;   in Loop: Header=BB19_3 Depth=1
	v_mov_b32_e32 v0, s22
	v_add_co_u32_e32 v2, vcc, s21, v2
	v_addc_co_u32_e32 v3, vcc, v0, v3, vcc
	s_waitcnt vmcnt(0)
	global_store_short v[2:3], v9, off
	s_branch .LBB19_2
.LBB19_11:
	s_endpgm
	.section	.rodata,"a",@progbits
	.p2align	6, 0x0
	.amdhsa_kernel batched_transpose_4x128_half
		.amdhsa_group_segment_fixed_size 0
		.amdhsa_private_segment_fixed_size 0
		.amdhsa_kernarg_size 48
		.amdhsa_user_sgpr_count 6
		.amdhsa_user_sgpr_private_segment_buffer 1
		.amdhsa_user_sgpr_dispatch_ptr 0
		.amdhsa_user_sgpr_queue_ptr 0
		.amdhsa_user_sgpr_kernarg_segment_ptr 1
		.amdhsa_user_sgpr_dispatch_id 0
		.amdhsa_user_sgpr_flat_scratch_init 0
		.amdhsa_user_sgpr_private_segment_size 0
		.amdhsa_uses_dynamic_stack 0
		.amdhsa_system_sgpr_private_segment_wavefront_offset 0
		.amdhsa_system_sgpr_workgroup_id_x 1
		.amdhsa_system_sgpr_workgroup_id_y 0
		.amdhsa_system_sgpr_workgroup_id_z 0
		.amdhsa_system_sgpr_workgroup_info 0
		.amdhsa_system_vgpr_workitem_id 0
		.amdhsa_next_free_vgpr 13
		.amdhsa_next_free_sgpr 26
		.amdhsa_reserve_vcc 1
		.amdhsa_reserve_flat_scratch 0
		.amdhsa_float_round_mode_32 0
		.amdhsa_float_round_mode_16_64 0
		.amdhsa_float_denorm_mode_32 3
		.amdhsa_float_denorm_mode_16_64 3
		.amdhsa_dx10_clamp 1
		.amdhsa_ieee_mode 1
		.amdhsa_fp16_overflow 0
		.amdhsa_exception_fp_ieee_invalid_op 0
		.amdhsa_exception_fp_denorm_src 0
		.amdhsa_exception_fp_ieee_div_zero 0
		.amdhsa_exception_fp_ieee_overflow 0
		.amdhsa_exception_fp_ieee_underflow 0
		.amdhsa_exception_fp_ieee_inexact 0
		.amdhsa_exception_int_div_zero 0
	.end_amdhsa_kernel
	.text
.Lfunc_end19:
	.size	batched_transpose_4x128_half, .Lfunc_end19-batched_transpose_4x128_half
                                        ; -- End function
	.set batched_transpose_4x128_half.num_vgpr, 13
	.set batched_transpose_4x128_half.num_agpr, 0
	.set batched_transpose_4x128_half.numbered_sgpr, 26
	.set batched_transpose_4x128_half.num_named_barrier, 0
	.set batched_transpose_4x128_half.private_seg_size, 0
	.set batched_transpose_4x128_half.uses_vcc, 1
	.set batched_transpose_4x128_half.uses_flat_scratch, 0
	.set batched_transpose_4x128_half.has_dyn_sized_stack, 0
	.set batched_transpose_4x128_half.has_recursion, 0
	.set batched_transpose_4x128_half.has_indirect_call, 0
	.section	.AMDGPU.csdata,"",@progbits
; Kernel info:
; codeLenInByte = 460
; TotalNumSgprs: 30
; NumVgprs: 13
; ScratchSize: 0
; MemoryBound: 0
; FloatMode: 240
; IeeeMode: 1
; LDSByteSize: 0 bytes/workgroup (compile time only)
; SGPRBlocks: 3
; VGPRBlocks: 3
; NumSGPRsForWavesPerEU: 30
; NumVGPRsForWavesPerEU: 13
; Occupancy: 10
; WaveLimiterHint : 0
; COMPUTE_PGM_RSRC2:SCRATCH_EN: 0
; COMPUTE_PGM_RSRC2:USER_SGPR: 6
; COMPUTE_PGM_RSRC2:TRAP_HANDLER: 0
; COMPUTE_PGM_RSRC2:TGID_X_EN: 1
; COMPUTE_PGM_RSRC2:TGID_Y_EN: 0
; COMPUTE_PGM_RSRC2:TGID_Z_EN: 0
; COMPUTE_PGM_RSRC2:TIDIG_COMP_CNT: 0
	.text
	.protected	batched_transpose_4x128_byte ; -- Begin function batched_transpose_4x128_byte
	.globl	batched_transpose_4x128_byte
	.p2align	8
	.type	batched_transpose_4x128_byte,@function
batched_transpose_4x128_byte:           ; @batched_transpose_4x128_byte
; %bb.0:
	s_load_dwordx8 s[8:15], s[4:5], 0x10
	s_waitcnt lgkmcnt(0)
	s_cmp_ge_u32 s6, s11
	s_cbranch_scc1 .LBB20_11
; %bb.1:
	s_load_dwordx4 s[16:19], s[4:5], 0x0
	s_add_i32 s0, s8, 0x7f
	s_lshr_b32 s7, s0, 7
	s_add_i32 s0, s9, 3
	s_lshl_b32 s1, s8, 1
	s_waitcnt lgkmcnt(0)
	s_add_u32 s21, s16, s1
	v_lshrrev_b32_e32 v1, 7, v0
	s_addc_u32 s22, s17, 0
	s_and_b32 s0, s0, -4
	v_and_b32_e32 v7, 0x7f, v0
	s_mov_b32 s20, s9
	s_sub_i32 s23, 0, s0
	v_lshl_or_b32 v8, s6, 2, v1
	s_lshl_b32 s24, s10, 2
	v_mov_b32_e32 v1, 0
	v_mov_b32_e32 v9, s8
                                        ; implicit-def: $vgpr10
                                        ; implicit-def: $vgpr11
	s_branch .LBB20_3
.LBB20_2:                               ;   in Loop: Header=BB20_3 Depth=1
	s_or_b64 exec, exec, s[2:3]
	s_add_i32 s6, s6, s10
	s_cmp_lt_u32 s6, s11
	v_add_u32_e32 v8, s24, v8
	s_cbranch_scc0 .LBB20_11
.LBB20_3:                               ; =>This Inner Loop Header: Depth=1
	s_mul_hi_u32 s0, s14, s6
	s_add_i32 s0, s6, s0
	s_lshr_b32 s0, s0, s15
	s_mul_hi_u32 s1, s0, s12
	s_add_i32 s1, s0, s1
	s_lshr_b32 s25, s1, s13
	s_mul_i32 s1, s25, s7
	s_sub_i32 s1, s0, s1
	v_lshl_or_b32 v0, s1, 7, v7
	s_mul_i32 s2, s23, s0
	v_mad_u64_u32 v[5:6], s[0:1], s25, v9, v[0:1]
	v_add_u32_e32 v2, s2, v8
	v_mov_b32_e32 v3, v1
	v_mad_u64_u32 v[4:5], s[0:1], v5, s20, v[2:3]
	v_cmp_gt_u32_e32 vcc, s8, v0
	v_mad_u64_u32 v[5:6], s[0:1], v6, s20, v[5:6]
	v_cmp_gt_u32_e64 s[0:1], s9, v2
	s_and_b64 s[2:3], s[0:1], vcc
	s_and_saveexec_b64 s[4:5], s[2:3]
	s_cbranch_execz .LBB20_5
; %bb.4:                                ;   in Loop: Header=BB20_3 Depth=1
	v_mov_b32_e32 v6, s19
	s_waitcnt vmcnt(0)
	v_add_co_u32_e64 v11, s[0:1], s18, v4
	v_addc_co_u32_e64 v12, s[0:1], v6, v5, s[0:1]
	global_load_ubyte v11, v[11:12], off
.LBB20_5:                               ;   in Loop: Header=BB20_3 Depth=1
	s_or_b64 exec, exec, s[4:5]
	v_add_u32_e32 v6, 2, v2
	v_cmp_gt_u32_e64 s[0:1], s9, v6
	s_and_b64 s[0:1], s[0:1], vcc
	s_and_saveexec_b64 s[4:5], s[0:1]
	s_cbranch_execz .LBB20_7
; %bb.6:                                ;   in Loop: Header=BB20_3 Depth=1
	v_mov_b32_e32 v6, s19
	v_add_co_u32_e32 v4, vcc, s18, v4
	v_addc_co_u32_e32 v5, vcc, v6, v5, vcc
	global_load_ubyte v10, v[4:5], off offset:2
.LBB20_7:                               ;   in Loop: Header=BB20_3 Depth=1
	s_or_b64 exec, exec, s[4:5]
	v_mov_b32_e32 v4, s20
	v_mad_u64_u32 v[3:4], s[4:5], s25, v4, v[2:3]
	v_mad_u64_u32 v[2:3], s[4:5], v3, s8, v[0:1]
	v_mov_b32_e32 v0, v3
	v_mad_u64_u32 v[3:4], s[4:5], v4, s8, v[0:1]
	s_and_saveexec_b64 s[4:5], s[2:3]
	s_cbranch_execz .LBB20_9
; %bb.8:                                ;   in Loop: Header=BB20_3 Depth=1
	v_mov_b32_e32 v0, s17
	v_add_co_u32_e32 v4, vcc, s16, v2
	v_addc_co_u32_e32 v5, vcc, v0, v3, vcc
	s_waitcnt vmcnt(0)
	global_store_byte v[4:5], v11, off
.LBB20_9:                               ;   in Loop: Header=BB20_3 Depth=1
	s_or_b64 exec, exec, s[4:5]
	s_and_saveexec_b64 s[2:3], s[0:1]
	s_cbranch_execz .LBB20_2
; %bb.10:                               ;   in Loop: Header=BB20_3 Depth=1
	v_mov_b32_e32 v0, s22
	v_add_co_u32_e32 v2, vcc, s21, v2
	v_addc_co_u32_e32 v3, vcc, v0, v3, vcc
	s_waitcnt vmcnt(0)
	global_store_byte v[2:3], v10, off
	s_branch .LBB20_2
.LBB20_11:
	s_endpgm
	.section	.rodata,"a",@progbits
	.p2align	6, 0x0
	.amdhsa_kernel batched_transpose_4x128_byte
		.amdhsa_group_segment_fixed_size 0
		.amdhsa_private_segment_fixed_size 0
		.amdhsa_kernarg_size 48
		.amdhsa_user_sgpr_count 6
		.amdhsa_user_sgpr_private_segment_buffer 1
		.amdhsa_user_sgpr_dispatch_ptr 0
		.amdhsa_user_sgpr_queue_ptr 0
		.amdhsa_user_sgpr_kernarg_segment_ptr 1
		.amdhsa_user_sgpr_dispatch_id 0
		.amdhsa_user_sgpr_flat_scratch_init 0
		.amdhsa_user_sgpr_private_segment_size 0
		.amdhsa_uses_dynamic_stack 0
		.amdhsa_system_sgpr_private_segment_wavefront_offset 0
		.amdhsa_system_sgpr_workgroup_id_x 1
		.amdhsa_system_sgpr_workgroup_id_y 0
		.amdhsa_system_sgpr_workgroup_id_z 0
		.amdhsa_system_sgpr_workgroup_info 0
		.amdhsa_system_vgpr_workitem_id 0
		.amdhsa_next_free_vgpr 13
		.amdhsa_next_free_sgpr 26
		.amdhsa_reserve_vcc 1
		.amdhsa_reserve_flat_scratch 0
		.amdhsa_float_round_mode_32 0
		.amdhsa_float_round_mode_16_64 0
		.amdhsa_float_denorm_mode_32 3
		.amdhsa_float_denorm_mode_16_64 3
		.amdhsa_dx10_clamp 1
		.amdhsa_ieee_mode 1
		.amdhsa_fp16_overflow 0
		.amdhsa_exception_fp_ieee_invalid_op 0
		.amdhsa_exception_fp_denorm_src 0
		.amdhsa_exception_fp_ieee_div_zero 0
		.amdhsa_exception_fp_ieee_overflow 0
		.amdhsa_exception_fp_ieee_underflow 0
		.amdhsa_exception_fp_ieee_inexact 0
		.amdhsa_exception_int_div_zero 0
	.end_amdhsa_kernel
	.text
.Lfunc_end20:
	.size	batched_transpose_4x128_byte, .Lfunc_end20-batched_transpose_4x128_byte
                                        ; -- End function
	.set batched_transpose_4x128_byte.num_vgpr, 13
	.set batched_transpose_4x128_byte.num_agpr, 0
	.set batched_transpose_4x128_byte.numbered_sgpr, 26
	.set batched_transpose_4x128_byte.num_named_barrier, 0
	.set batched_transpose_4x128_byte.private_seg_size, 0
	.set batched_transpose_4x128_byte.uses_vcc, 1
	.set batched_transpose_4x128_byte.uses_flat_scratch, 0
	.set batched_transpose_4x128_byte.has_dyn_sized_stack, 0
	.set batched_transpose_4x128_byte.has_recursion, 0
	.set batched_transpose_4x128_byte.has_indirect_call, 0
	.section	.AMDGPU.csdata,"",@progbits
; Kernel info:
; codeLenInByte = 420
; TotalNumSgprs: 30
; NumVgprs: 13
; ScratchSize: 0
; MemoryBound: 0
; FloatMode: 240
; IeeeMode: 1
; LDSByteSize: 0 bytes/workgroup (compile time only)
; SGPRBlocks: 3
; VGPRBlocks: 3
; NumSGPRsForWavesPerEU: 30
; NumVGPRsForWavesPerEU: 13
; Occupancy: 10
; WaveLimiterHint : 0
; COMPUTE_PGM_RSRC2:SCRATCH_EN: 0
; COMPUTE_PGM_RSRC2:USER_SGPR: 6
; COMPUTE_PGM_RSRC2:TRAP_HANDLER: 0
; COMPUTE_PGM_RSRC2:TGID_X_EN: 1
; COMPUTE_PGM_RSRC2:TGID_Y_EN: 0
; COMPUTE_PGM_RSRC2:TGID_Z_EN: 0
; COMPUTE_PGM_RSRC2:TIDIG_COMP_CNT: 0
	.text
	.protected	batched_transpose_128x4_dword ; -- Begin function batched_transpose_128x4_dword
	.globl	batched_transpose_128x4_dword
	.p2align	8
	.type	batched_transpose_128x4_dword,@function
batched_transpose_128x4_dword:          ; @batched_transpose_128x4_dword
; %bb.0:
	s_load_dwordx8 s[8:15], s[4:5], 0x10
	s_waitcnt lgkmcnt(0)
	s_cmp_ge_u32 s6, s11
	s_cbranch_scc1 .LBB21_11
; %bb.1:
	s_load_dwordx4 s[16:19], s[4:5], 0x0
	s_add_i32 s0, s8, 3
	s_lshr_b32 s7, s0, 2
	s_mov_b32 s1, 0
	s_lshl_b32 s0, s9, 1
	s_add_i32 s2, s9, 0x7f
	s_lshl_b64 s[0:1], s[0:1], 2
	s_waitcnt lgkmcnt(0)
	s_add_u32 s21, s18, s0
	v_and_b32_e32 v1, 0x7f, v0
	s_addc_u32 s22, s19, s1
	s_and_b32 s0, s2, 0xffffff80
	v_lshrrev_b32_e32 v6, 7, v0
	s_mov_b32 s20, s9
	s_sub_i32 s23, 0, s0
	v_lshl_or_b32 v7, s6, 7, v1
	s_lshl_b32 s24, s10, 7
	v_mov_b32_e32 v1, 0
	v_mov_b32_e32 v8, s8
                                        ; implicit-def: $vgpr9
                                        ; implicit-def: $vgpr10
	s_branch .LBB21_3
.LBB21_2:                               ;   in Loop: Header=BB21_3 Depth=1
	s_or_b64 exec, exec, s[2:3]
	s_add_i32 s6, s6, s10
	s_cmp_lt_u32 s6, s11
	v_add_u32_e32 v7, s24, v7
	s_cbranch_scc0 .LBB21_11
.LBB21_3:                               ; =>This Inner Loop Header: Depth=1
	s_mul_hi_u32 s0, s14, s6
	s_add_i32 s0, s6, s0
	s_lshr_b32 s0, s0, s15
	s_mul_hi_u32 s1, s0, s12
	s_add_i32 s1, s0, s1
	s_lshr_b32 s25, s1, s13
	s_mul_i32 s1, s25, s7
	s_sub_i32 s1, s0, s1
	v_lshl_or_b32 v0, s1, 2, v6
	s_mul_i32 s2, s23, s0
	v_mad_u64_u32 v[4:5], s[0:1], s25, v8, v[0:1]
	v_add_u32_e32 v2, s2, v7
	v_mov_b32_e32 v3, v1
	v_mad_u64_u32 v[11:12], s[0:1], v4, s20, v[2:3]
	v_cmp_gt_u32_e32 vcc, s9, v2
	v_mov_b32_e32 v4, v12
	v_mad_u64_u32 v[4:5], s[0:1], v5, s20, v[4:5]
	v_cmp_gt_u32_e64 s[0:1], s8, v0
	s_and_b64 s[2:3], s[0:1], vcc
	v_mov_b32_e32 v12, v4
	v_lshlrev_b64 v[4:5], 2, v[11:12]
	s_and_saveexec_b64 s[4:5], s[2:3]
	s_cbranch_execz .LBB21_5
; %bb.4:                                ;   in Loop: Header=BB21_3 Depth=1
	v_mov_b32_e32 v11, s19
	s_waitcnt vmcnt(0)
	v_add_co_u32_e64 v10, s[0:1], s18, v4
	v_addc_co_u32_e64 v11, s[0:1], v11, v5, s[0:1]
	global_load_dword v10, v[10:11], off
.LBB21_5:                               ;   in Loop: Header=BB21_3 Depth=1
	s_or_b64 exec, exec, s[4:5]
	v_add_u32_e32 v11, 2, v0
	v_cmp_gt_u32_e64 s[0:1], s8, v11
	s_and_b64 s[0:1], s[0:1], vcc
	s_and_saveexec_b64 s[4:5], s[0:1]
	s_cbranch_execz .LBB21_7
; %bb.6:                                ;   in Loop: Header=BB21_3 Depth=1
	s_waitcnt vmcnt(0)
	v_mov_b32_e32 v9, s22
	v_add_co_u32_e32 v4, vcc, s21, v4
	v_addc_co_u32_e32 v5, vcc, v9, v5, vcc
	global_load_dword v9, v[4:5], off
.LBB21_7:                               ;   in Loop: Header=BB21_3 Depth=1
	s_or_b64 exec, exec, s[4:5]
	v_mov_b32_e32 v4, s20
	v_mad_u64_u32 v[2:3], s[4:5], s25, v4, v[2:3]
	v_mad_u64_u32 v[4:5], s[4:5], v2, s8, v[0:1]
	v_mov_b32_e32 v0, v5
	v_mad_u64_u32 v[2:3], s[4:5], v3, s8, v[0:1]
	v_mov_b32_e32 v5, v2
	v_lshlrev_b64 v[2:3], 2, v[4:5]
	s_and_saveexec_b64 s[4:5], s[2:3]
	s_cbranch_execz .LBB21_9
; %bb.8:                                ;   in Loop: Header=BB21_3 Depth=1
	v_mov_b32_e32 v0, s17
	v_add_co_u32_e32 v4, vcc, s16, v2
	v_addc_co_u32_e32 v5, vcc, v0, v3, vcc
	s_waitcnt vmcnt(0)
	global_store_dword v[4:5], v10, off
.LBB21_9:                               ;   in Loop: Header=BB21_3 Depth=1
	s_or_b64 exec, exec, s[4:5]
	s_and_saveexec_b64 s[2:3], s[0:1]
	s_cbranch_execz .LBB21_2
; %bb.10:                               ;   in Loop: Header=BB21_3 Depth=1
	v_mov_b32_e32 v0, s17
	v_add_co_u32_e32 v2, vcc, s16, v2
	v_addc_co_u32_e32 v3, vcc, v0, v3, vcc
	s_waitcnt vmcnt(0)
	global_store_dword v[2:3], v9, off offset:8
	s_branch .LBB21_2
.LBB21_11:
	s_endpgm
	.section	.rodata,"a",@progbits
	.p2align	6, 0x0
	.amdhsa_kernel batched_transpose_128x4_dword
		.amdhsa_group_segment_fixed_size 0
		.amdhsa_private_segment_fixed_size 0
		.amdhsa_kernarg_size 48
		.amdhsa_user_sgpr_count 6
		.amdhsa_user_sgpr_private_segment_buffer 1
		.amdhsa_user_sgpr_dispatch_ptr 0
		.amdhsa_user_sgpr_queue_ptr 0
		.amdhsa_user_sgpr_kernarg_segment_ptr 1
		.amdhsa_user_sgpr_dispatch_id 0
		.amdhsa_user_sgpr_flat_scratch_init 0
		.amdhsa_user_sgpr_private_segment_size 0
		.amdhsa_uses_dynamic_stack 0
		.amdhsa_system_sgpr_private_segment_wavefront_offset 0
		.amdhsa_system_sgpr_workgroup_id_x 1
		.amdhsa_system_sgpr_workgroup_id_y 0
		.amdhsa_system_sgpr_workgroup_id_z 0
		.amdhsa_system_sgpr_workgroup_info 0
		.amdhsa_system_vgpr_workitem_id 0
		.amdhsa_next_free_vgpr 13
		.amdhsa_next_free_sgpr 26
		.amdhsa_reserve_vcc 1
		.amdhsa_reserve_flat_scratch 0
		.amdhsa_float_round_mode_32 0
		.amdhsa_float_round_mode_16_64 0
		.amdhsa_float_denorm_mode_32 3
		.amdhsa_float_denorm_mode_16_64 3
		.amdhsa_dx10_clamp 1
		.amdhsa_ieee_mode 1
		.amdhsa_fp16_overflow 0
		.amdhsa_exception_fp_ieee_invalid_op 0
		.amdhsa_exception_fp_denorm_src 0
		.amdhsa_exception_fp_ieee_div_zero 0
		.amdhsa_exception_fp_ieee_overflow 0
		.amdhsa_exception_fp_ieee_underflow 0
		.amdhsa_exception_fp_ieee_inexact 0
		.amdhsa_exception_int_div_zero 0
	.end_amdhsa_kernel
	.text
.Lfunc_end21:
	.size	batched_transpose_128x4_dword, .Lfunc_end21-batched_transpose_128x4_dword
                                        ; -- End function
	.set batched_transpose_128x4_dword.num_vgpr, 13
	.set batched_transpose_128x4_dword.num_agpr, 0
	.set batched_transpose_128x4_dword.numbered_sgpr, 26
	.set batched_transpose_128x4_dword.num_named_barrier, 0
	.set batched_transpose_128x4_dword.private_seg_size, 0
	.set batched_transpose_128x4_dword.uses_vcc, 1
	.set batched_transpose_128x4_dword.uses_flat_scratch, 0
	.set batched_transpose_128x4_dword.has_dyn_sized_stack, 0
	.set batched_transpose_128x4_dword.has_recursion, 0
	.set batched_transpose_128x4_dword.has_indirect_call, 0
	.section	.AMDGPU.csdata,"",@progbits
; Kernel info:
; codeLenInByte = 464
; TotalNumSgprs: 30
; NumVgprs: 13
; ScratchSize: 0
; MemoryBound: 0
; FloatMode: 240
; IeeeMode: 1
; LDSByteSize: 0 bytes/workgroup (compile time only)
; SGPRBlocks: 3
; VGPRBlocks: 3
; NumSGPRsForWavesPerEU: 30
; NumVGPRsForWavesPerEU: 13
; Occupancy: 10
; WaveLimiterHint : 0
; COMPUTE_PGM_RSRC2:SCRATCH_EN: 0
; COMPUTE_PGM_RSRC2:USER_SGPR: 6
; COMPUTE_PGM_RSRC2:TRAP_HANDLER: 0
; COMPUTE_PGM_RSRC2:TGID_X_EN: 1
; COMPUTE_PGM_RSRC2:TGID_Y_EN: 0
; COMPUTE_PGM_RSRC2:TGID_Z_EN: 0
; COMPUTE_PGM_RSRC2:TIDIG_COMP_CNT: 0
	.text
	.protected	batched_transpose_128x4_half ; -- Begin function batched_transpose_128x4_half
	.globl	batched_transpose_128x4_half
	.p2align	8
	.type	batched_transpose_128x4_half,@function
batched_transpose_128x4_half:           ; @batched_transpose_128x4_half
; %bb.0:
	s_load_dwordx8 s[8:15], s[4:5], 0x10
	s_waitcnt lgkmcnt(0)
	s_cmp_ge_u32 s6, s11
	s_cbranch_scc1 .LBB22_11
; %bb.1:
	s_load_dwordx4 s[16:19], s[4:5], 0x0
	s_add_i32 s0, s8, 3
	s_lshr_b32 s7, s0, 2
	s_mov_b32 s1, 0
	s_lshl_b32 s0, s9, 1
	s_add_i32 s2, s9, 0x7f
	s_lshl_b64 s[0:1], s[0:1], 1
	s_waitcnt lgkmcnt(0)
	s_add_u32 s21, s18, s0
	v_and_b32_e32 v1, 0x7f, v0
	s_addc_u32 s22, s19, s1
	s_and_b32 s0, s2, 0xffffff80
	v_lshrrev_b32_e32 v6, 7, v0
	s_mov_b32 s20, s9
	s_sub_i32 s23, 0, s0
	v_lshl_or_b32 v7, s6, 7, v1
	s_lshl_b32 s24, s10, 7
	v_mov_b32_e32 v1, 0
	v_mov_b32_e32 v8, s8
                                        ; implicit-def: $vgpr9
                                        ; implicit-def: $vgpr10
	s_branch .LBB22_3
.LBB22_2:                               ;   in Loop: Header=BB22_3 Depth=1
	s_or_b64 exec, exec, s[2:3]
	s_add_i32 s6, s6, s10
	s_cmp_lt_u32 s6, s11
	v_add_u32_e32 v7, s24, v7
	s_cbranch_scc0 .LBB22_11
.LBB22_3:                               ; =>This Inner Loop Header: Depth=1
	s_mul_hi_u32 s0, s14, s6
	s_add_i32 s0, s6, s0
	s_lshr_b32 s0, s0, s15
	s_mul_hi_u32 s1, s0, s12
	s_add_i32 s1, s0, s1
	s_lshr_b32 s25, s1, s13
	s_mul_i32 s1, s25, s7
	s_sub_i32 s1, s0, s1
	v_lshl_or_b32 v0, s1, 2, v6
	s_mul_i32 s2, s23, s0
	v_mad_u64_u32 v[4:5], s[0:1], s25, v8, v[0:1]
	v_add_u32_e32 v2, s2, v7
	v_mov_b32_e32 v3, v1
	v_mad_u64_u32 v[11:12], s[0:1], v4, s20, v[2:3]
	v_cmp_gt_u32_e32 vcc, s9, v2
	v_mov_b32_e32 v4, v12
	v_mad_u64_u32 v[4:5], s[0:1], v5, s20, v[4:5]
	v_cmp_gt_u32_e64 s[0:1], s8, v0
	s_and_b64 s[2:3], s[0:1], vcc
	v_mov_b32_e32 v12, v4
	v_lshlrev_b64 v[4:5], 1, v[11:12]
	s_and_saveexec_b64 s[4:5], s[2:3]
	s_cbranch_execz .LBB22_5
; %bb.4:                                ;   in Loop: Header=BB22_3 Depth=1
	v_mov_b32_e32 v11, s19
	s_waitcnt vmcnt(0)
	v_add_co_u32_e64 v10, s[0:1], s18, v4
	v_addc_co_u32_e64 v11, s[0:1], v11, v5, s[0:1]
	global_load_ushort v10, v[10:11], off
.LBB22_5:                               ;   in Loop: Header=BB22_3 Depth=1
	s_or_b64 exec, exec, s[4:5]
	v_add_u32_e32 v11, 2, v0
	v_cmp_gt_u32_e64 s[0:1], s8, v11
	s_and_b64 s[0:1], s[0:1], vcc
	s_and_saveexec_b64 s[4:5], s[0:1]
	s_cbranch_execz .LBB22_7
; %bb.6:                                ;   in Loop: Header=BB22_3 Depth=1
	s_waitcnt vmcnt(0)
	v_mov_b32_e32 v9, s22
	v_add_co_u32_e32 v4, vcc, s21, v4
	v_addc_co_u32_e32 v5, vcc, v9, v5, vcc
	global_load_ushort v9, v[4:5], off
.LBB22_7:                               ;   in Loop: Header=BB22_3 Depth=1
	s_or_b64 exec, exec, s[4:5]
	v_mov_b32_e32 v4, s20
	v_mad_u64_u32 v[2:3], s[4:5], s25, v4, v[2:3]
	v_mad_u64_u32 v[4:5], s[4:5], v2, s8, v[0:1]
	v_mov_b32_e32 v0, v5
	v_mad_u64_u32 v[2:3], s[4:5], v3, s8, v[0:1]
	v_mov_b32_e32 v5, v2
	v_lshlrev_b64 v[2:3], 1, v[4:5]
	s_and_saveexec_b64 s[4:5], s[2:3]
	s_cbranch_execz .LBB22_9
; %bb.8:                                ;   in Loop: Header=BB22_3 Depth=1
	v_mov_b32_e32 v0, s17
	v_add_co_u32_e32 v4, vcc, s16, v2
	v_addc_co_u32_e32 v5, vcc, v0, v3, vcc
	s_waitcnt vmcnt(0)
	global_store_short v[4:5], v10, off
.LBB22_9:                               ;   in Loop: Header=BB22_3 Depth=1
	s_or_b64 exec, exec, s[4:5]
	s_and_saveexec_b64 s[2:3], s[0:1]
	s_cbranch_execz .LBB22_2
; %bb.10:                               ;   in Loop: Header=BB22_3 Depth=1
	v_mov_b32_e32 v0, s17
	v_add_co_u32_e32 v2, vcc, s16, v2
	v_addc_co_u32_e32 v3, vcc, v0, v3, vcc
	s_waitcnt vmcnt(0)
	global_store_short v[2:3], v9, off offset:4
	s_branch .LBB22_2
.LBB22_11:
	s_endpgm
	.section	.rodata,"a",@progbits
	.p2align	6, 0x0
	.amdhsa_kernel batched_transpose_128x4_half
		.amdhsa_group_segment_fixed_size 0
		.amdhsa_private_segment_fixed_size 0
		.amdhsa_kernarg_size 48
		.amdhsa_user_sgpr_count 6
		.amdhsa_user_sgpr_private_segment_buffer 1
		.amdhsa_user_sgpr_dispatch_ptr 0
		.amdhsa_user_sgpr_queue_ptr 0
		.amdhsa_user_sgpr_kernarg_segment_ptr 1
		.amdhsa_user_sgpr_dispatch_id 0
		.amdhsa_user_sgpr_flat_scratch_init 0
		.amdhsa_user_sgpr_private_segment_size 0
		.amdhsa_uses_dynamic_stack 0
		.amdhsa_system_sgpr_private_segment_wavefront_offset 0
		.amdhsa_system_sgpr_workgroup_id_x 1
		.amdhsa_system_sgpr_workgroup_id_y 0
		.amdhsa_system_sgpr_workgroup_id_z 0
		.amdhsa_system_sgpr_workgroup_info 0
		.amdhsa_system_vgpr_workitem_id 0
		.amdhsa_next_free_vgpr 13
		.amdhsa_next_free_sgpr 26
		.amdhsa_reserve_vcc 1
		.amdhsa_reserve_flat_scratch 0
		.amdhsa_float_round_mode_32 0
		.amdhsa_float_round_mode_16_64 0
		.amdhsa_float_denorm_mode_32 3
		.amdhsa_float_denorm_mode_16_64 3
		.amdhsa_dx10_clamp 1
		.amdhsa_ieee_mode 1
		.amdhsa_fp16_overflow 0
		.amdhsa_exception_fp_ieee_invalid_op 0
		.amdhsa_exception_fp_denorm_src 0
		.amdhsa_exception_fp_ieee_div_zero 0
		.amdhsa_exception_fp_ieee_overflow 0
		.amdhsa_exception_fp_ieee_underflow 0
		.amdhsa_exception_fp_ieee_inexact 0
		.amdhsa_exception_int_div_zero 0
	.end_amdhsa_kernel
	.text
.Lfunc_end22:
	.size	batched_transpose_128x4_half, .Lfunc_end22-batched_transpose_128x4_half
                                        ; -- End function
	.set batched_transpose_128x4_half.num_vgpr, 13
	.set batched_transpose_128x4_half.num_agpr, 0
	.set batched_transpose_128x4_half.numbered_sgpr, 26
	.set batched_transpose_128x4_half.num_named_barrier, 0
	.set batched_transpose_128x4_half.private_seg_size, 0
	.set batched_transpose_128x4_half.uses_vcc, 1
	.set batched_transpose_128x4_half.uses_flat_scratch, 0
	.set batched_transpose_128x4_half.has_dyn_sized_stack, 0
	.set batched_transpose_128x4_half.has_recursion, 0
	.set batched_transpose_128x4_half.has_indirect_call, 0
	.section	.AMDGPU.csdata,"",@progbits
; Kernel info:
; codeLenInByte = 464
; TotalNumSgprs: 30
; NumVgprs: 13
; ScratchSize: 0
; MemoryBound: 0
; FloatMode: 240
; IeeeMode: 1
; LDSByteSize: 0 bytes/workgroup (compile time only)
; SGPRBlocks: 3
; VGPRBlocks: 3
; NumSGPRsForWavesPerEU: 30
; NumVGPRsForWavesPerEU: 13
; Occupancy: 10
; WaveLimiterHint : 0
; COMPUTE_PGM_RSRC2:SCRATCH_EN: 0
; COMPUTE_PGM_RSRC2:USER_SGPR: 6
; COMPUTE_PGM_RSRC2:TRAP_HANDLER: 0
; COMPUTE_PGM_RSRC2:TGID_X_EN: 1
; COMPUTE_PGM_RSRC2:TGID_Y_EN: 0
; COMPUTE_PGM_RSRC2:TGID_Z_EN: 0
; COMPUTE_PGM_RSRC2:TIDIG_COMP_CNT: 0
	.text
	.protected	batched_transpose_128x4_byte ; -- Begin function batched_transpose_128x4_byte
	.globl	batched_transpose_128x4_byte
	.p2align	8
	.type	batched_transpose_128x4_byte,@function
batched_transpose_128x4_byte:           ; @batched_transpose_128x4_byte
; %bb.0:
	s_load_dwordx8 s[8:15], s[4:5], 0x10
	s_waitcnt lgkmcnt(0)
	s_cmp_ge_u32 s6, s11
	s_cbranch_scc1 .LBB23_11
; %bb.1:
	s_load_dwordx4 s[16:19], s[4:5], 0x0
	s_add_i32 s0, s8, 3
	s_lshr_b32 s7, s0, 2
	s_add_i32 s0, s9, 0x7f
	s_lshl_b32 s1, s9, 1
	s_waitcnt lgkmcnt(0)
	s_add_u32 s21, s18, s1
	v_and_b32_e32 v1, 0x7f, v0
	s_addc_u32 s22, s19, 0
	s_and_b32 s0, s0, 0xffffff80
	v_lshrrev_b32_e32 v7, 7, v0
	s_mov_b32 s20, s9
	s_sub_i32 s23, 0, s0
	v_lshl_or_b32 v8, s6, 7, v1
	s_lshl_b32 s24, s10, 7
	v_mov_b32_e32 v1, 0
	v_mov_b32_e32 v9, s8
                                        ; implicit-def: $vgpr10
                                        ; implicit-def: $vgpr11
	s_branch .LBB23_3
.LBB23_2:                               ;   in Loop: Header=BB23_3 Depth=1
	s_or_b64 exec, exec, s[2:3]
	s_add_i32 s6, s6, s10
	s_cmp_lt_u32 s6, s11
	v_add_u32_e32 v8, s24, v8
	s_cbranch_scc0 .LBB23_11
.LBB23_3:                               ; =>This Inner Loop Header: Depth=1
	s_mul_hi_u32 s0, s14, s6
	s_add_i32 s0, s6, s0
	s_lshr_b32 s0, s0, s15
	s_mul_hi_u32 s1, s0, s12
	s_add_i32 s1, s0, s1
	s_lshr_b32 s25, s1, s13
	s_mul_i32 s1, s25, s7
	s_sub_i32 s1, s0, s1
	v_lshl_or_b32 v0, s1, 2, v7
	s_mul_i32 s2, s23, s0
	v_mad_u64_u32 v[5:6], s[0:1], s25, v9, v[0:1]
	v_add_u32_e32 v2, s2, v8
	v_mov_b32_e32 v3, v1
	v_mad_u64_u32 v[4:5], s[0:1], v5, s20, v[2:3]
	v_cmp_gt_u32_e32 vcc, s9, v2
	v_mad_u64_u32 v[5:6], s[0:1], v6, s20, v[5:6]
	v_cmp_gt_u32_e64 s[0:1], s8, v0
	s_and_b64 s[2:3], s[0:1], vcc
	s_and_saveexec_b64 s[4:5], s[2:3]
	s_cbranch_execz .LBB23_5
; %bb.4:                                ;   in Loop: Header=BB23_3 Depth=1
	v_mov_b32_e32 v6, s19
	s_waitcnt vmcnt(0)
	v_add_co_u32_e64 v11, s[0:1], s18, v4
	v_addc_co_u32_e64 v12, s[0:1], v6, v5, s[0:1]
	global_load_ubyte v11, v[11:12], off
.LBB23_5:                               ;   in Loop: Header=BB23_3 Depth=1
	s_or_b64 exec, exec, s[4:5]
	v_add_u32_e32 v6, 2, v0
	v_cmp_gt_u32_e64 s[0:1], s8, v6
	s_and_b64 s[0:1], s[0:1], vcc
	s_and_saveexec_b64 s[4:5], s[0:1]
	s_cbranch_execz .LBB23_7
; %bb.6:                                ;   in Loop: Header=BB23_3 Depth=1
	v_mov_b32_e32 v6, s22
	v_add_co_u32_e32 v4, vcc, s21, v4
	v_addc_co_u32_e32 v5, vcc, v6, v5, vcc
	global_load_ubyte v10, v[4:5], off
.LBB23_7:                               ;   in Loop: Header=BB23_3 Depth=1
	s_or_b64 exec, exec, s[4:5]
	v_mov_b32_e32 v4, s20
	v_mad_u64_u32 v[3:4], s[4:5], s25, v4, v[2:3]
	v_mad_u64_u32 v[2:3], s[4:5], v3, s8, v[0:1]
	v_mov_b32_e32 v0, v3
	v_mad_u64_u32 v[3:4], s[4:5], v4, s8, v[0:1]
	s_and_saveexec_b64 s[4:5], s[2:3]
	s_cbranch_execz .LBB23_9
; %bb.8:                                ;   in Loop: Header=BB23_3 Depth=1
	v_mov_b32_e32 v0, s17
	v_add_co_u32_e32 v4, vcc, s16, v2
	v_addc_co_u32_e32 v5, vcc, v0, v3, vcc
	s_waitcnt vmcnt(0)
	global_store_byte v[4:5], v11, off
.LBB23_9:                               ;   in Loop: Header=BB23_3 Depth=1
	s_or_b64 exec, exec, s[4:5]
	s_and_saveexec_b64 s[2:3], s[0:1]
	s_cbranch_execz .LBB23_2
; %bb.10:                               ;   in Loop: Header=BB23_3 Depth=1
	v_mov_b32_e32 v0, s17
	v_add_co_u32_e32 v2, vcc, s16, v2
	v_addc_co_u32_e32 v3, vcc, v0, v3, vcc
	s_waitcnt vmcnt(0)
	global_store_byte v[2:3], v10, off offset:2
	s_branch .LBB23_2
.LBB23_11:
	s_endpgm
	.section	.rodata,"a",@progbits
	.p2align	6, 0x0
	.amdhsa_kernel batched_transpose_128x4_byte
		.amdhsa_group_segment_fixed_size 0
		.amdhsa_private_segment_fixed_size 0
		.amdhsa_kernarg_size 48
		.amdhsa_user_sgpr_count 6
		.amdhsa_user_sgpr_private_segment_buffer 1
		.amdhsa_user_sgpr_dispatch_ptr 0
		.amdhsa_user_sgpr_queue_ptr 0
		.amdhsa_user_sgpr_kernarg_segment_ptr 1
		.amdhsa_user_sgpr_dispatch_id 0
		.amdhsa_user_sgpr_flat_scratch_init 0
		.amdhsa_user_sgpr_private_segment_size 0
		.amdhsa_uses_dynamic_stack 0
		.amdhsa_system_sgpr_private_segment_wavefront_offset 0
		.amdhsa_system_sgpr_workgroup_id_x 1
		.amdhsa_system_sgpr_workgroup_id_y 0
		.amdhsa_system_sgpr_workgroup_id_z 0
		.amdhsa_system_sgpr_workgroup_info 0
		.amdhsa_system_vgpr_workitem_id 0
		.amdhsa_next_free_vgpr 13
		.amdhsa_next_free_sgpr 26
		.amdhsa_reserve_vcc 1
		.amdhsa_reserve_flat_scratch 0
		.amdhsa_float_round_mode_32 0
		.amdhsa_float_round_mode_16_64 0
		.amdhsa_float_denorm_mode_32 3
		.amdhsa_float_denorm_mode_16_64 3
		.amdhsa_dx10_clamp 1
		.amdhsa_ieee_mode 1
		.amdhsa_fp16_overflow 0
		.amdhsa_exception_fp_ieee_invalid_op 0
		.amdhsa_exception_fp_denorm_src 0
		.amdhsa_exception_fp_ieee_div_zero 0
		.amdhsa_exception_fp_ieee_overflow 0
		.amdhsa_exception_fp_ieee_underflow 0
		.amdhsa_exception_fp_ieee_inexact 0
		.amdhsa_exception_int_div_zero 0
	.end_amdhsa_kernel
	.text
.Lfunc_end23:
	.size	batched_transpose_128x4_byte, .Lfunc_end23-batched_transpose_128x4_byte
                                        ; -- End function
	.set batched_transpose_128x4_byte.num_vgpr, 13
	.set batched_transpose_128x4_byte.num_agpr, 0
	.set batched_transpose_128x4_byte.numbered_sgpr, 26
	.set batched_transpose_128x4_byte.num_named_barrier, 0
	.set batched_transpose_128x4_byte.private_seg_size, 0
	.set batched_transpose_128x4_byte.uses_vcc, 1
	.set batched_transpose_128x4_byte.uses_flat_scratch, 0
	.set batched_transpose_128x4_byte.has_dyn_sized_stack, 0
	.set batched_transpose_128x4_byte.has_recursion, 0
	.set batched_transpose_128x4_byte.has_indirect_call, 0
	.section	.AMDGPU.csdata,"",@progbits
; Kernel info:
; codeLenInByte = 424
; TotalNumSgprs: 30
; NumVgprs: 13
; ScratchSize: 0
; MemoryBound: 0
; FloatMode: 240
; IeeeMode: 1
; LDSByteSize: 0 bytes/workgroup (compile time only)
; SGPRBlocks: 3
; VGPRBlocks: 3
; NumSGPRsForWavesPerEU: 30
; NumVGPRsForWavesPerEU: 13
; Occupancy: 10
; WaveLimiterHint : 0
; COMPUTE_PGM_RSRC2:SCRATCH_EN: 0
; COMPUTE_PGM_RSRC2:USER_SGPR: 6
; COMPUTE_PGM_RSRC2:TRAP_HANDLER: 0
; COMPUTE_PGM_RSRC2:TGID_X_EN: 1
; COMPUTE_PGM_RSRC2:TGID_Y_EN: 0
; COMPUTE_PGM_RSRC2:TGID_Z_EN: 0
; COMPUTE_PGM_RSRC2:TIDIG_COMP_CNT: 0
	.text
	.protected	batched_transpose_4x64_dword ; -- Begin function batched_transpose_4x64_dword
	.globl	batched_transpose_4x64_dword
	.p2align	8
	.type	batched_transpose_4x64_dword,@function
batched_transpose_4x64_dword:           ; @batched_transpose_4x64_dword
; %bb.0:
	s_load_dwordx8 s[8:15], s[4:5], 0x10
	s_waitcnt lgkmcnt(0)
	s_cmp_ge_u32 s6, s11
	s_cbranch_scc1 .LBB24_7
; %bb.1:
	s_load_dwordx4 s[16:19], s[4:5], 0x0
	s_add_i32 s0, s8, 63
	s_lshr_b32 s4, s0, 6
	s_add_i32 s0, s9, 3
	v_lshrrev_b32_e32 v1, 6, v0
	s_and_b32 s0, s0, -4
	v_and_b32_e32 v4, 63, v0
	s_mov_b32 s5, s9
	s_sub_i32 s7, 0, s0
	v_lshl_or_b32 v5, s6, 2, v1
	s_lshl_b32 s20, s10, 2
	v_mov_b32_e32 v1, 0
                                        ; implicit-def: $vgpr6
	s_branch .LBB24_3
.LBB24_2:                               ;   in Loop: Header=BB24_3 Depth=1
	s_or_b64 exec, exec, s[2:3]
	s_add_i32 s6, s6, s10
	s_cmp_lt_u32 s6, s11
	v_add_u32_e32 v5, s20, v5
	s_cbranch_scc0 .LBB24_7
.LBB24_3:                               ; =>This Inner Loop Header: Depth=1
	s_mul_hi_u32 s0, s14, s6
	s_add_i32 s0, s6, s0
	s_lshr_b32 s0, s0, s15
	s_mul_hi_u32 s1, s0, s12
	s_add_i32 s1, s0, s1
	s_lshr_b32 s21, s1, s13
	s_mul_i32 s1, s21, s4
	s_sub_i32 s1, s0, s1
	s_mul_i32 s0, s7, s0
	v_add_u32_e32 v2, s0, v5
	v_lshl_or_b32 v0, s1, 6, v4
	v_cmp_gt_u32_e32 vcc, s8, v0
	v_cmp_gt_u32_e64 s[0:1], s9, v2
	v_mov_b32_e32 v3, v1
	s_and_b64 s[0:1], s[0:1], vcc
	s_and_saveexec_b64 s[2:3], s[0:1]
	s_cbranch_execz .LBB24_5
; %bb.4:                                ;   in Loop: Header=BB24_3 Depth=1
	s_waitcnt vmcnt(0)
	v_mov_b32_e32 v6, s8
	v_mad_u64_u32 v[6:7], s[22:23], s21, v6, v[0:1]
	s_waitcnt lgkmcnt(0)
	v_mov_b32_e32 v12, s19
	v_lshlrev_b64 v[10:11], 2, v[2:3]
	v_mad_u64_u32 v[8:9], s[22:23], v6, s5, 0
	v_mov_b32_e32 v6, v9
	v_mad_u64_u32 v[6:7], s[22:23], v7, s5, v[6:7]
	v_mov_b32_e32 v9, v6
	v_lshlrev_b64 v[6:7], 2, v[8:9]
	v_add_co_u32_e32 v6, vcc, s18, v6
	v_addc_co_u32_e32 v7, vcc, v12, v7, vcc
	v_add_co_u32_e32 v6, vcc, v6, v10
	v_addc_co_u32_e32 v7, vcc, v7, v11, vcc
	global_load_dword v6, v[6:7], off
.LBB24_5:                               ;   in Loop: Header=BB24_3 Depth=1
	s_or_b64 exec, exec, s[2:3]
	s_and_saveexec_b64 s[2:3], s[0:1]
	s_cbranch_execz .LBB24_2
; %bb.6:                                ;   in Loop: Header=BB24_3 Depth=1
	v_mov_b32_e32 v7, s5
	v_mad_u64_u32 v[2:3], s[0:1], s21, v7, v[2:3]
	s_waitcnt lgkmcnt(0)
	v_mov_b32_e32 v11, s17
	v_lshlrev_b64 v[9:10], 2, v[0:1]
	v_mad_u64_u32 v[7:8], s[0:1], v2, s8, 0
	v_mov_b32_e32 v2, v8
	v_mad_u64_u32 v[2:3], s[0:1], v3, s8, v[2:3]
	v_mov_b32_e32 v8, v2
	v_lshlrev_b64 v[2:3], 2, v[7:8]
	v_add_co_u32_e32 v0, vcc, s16, v2
	v_addc_co_u32_e32 v3, vcc, v11, v3, vcc
	v_add_co_u32_e32 v2, vcc, v0, v9
	v_addc_co_u32_e32 v3, vcc, v3, v10, vcc
	s_waitcnt vmcnt(0)
	global_store_dword v[2:3], v6, off
	s_branch .LBB24_2
.LBB24_7:
	s_endpgm
	.section	.rodata,"a",@progbits
	.p2align	6, 0x0
	.amdhsa_kernel batched_transpose_4x64_dword
		.amdhsa_group_segment_fixed_size 0
		.amdhsa_private_segment_fixed_size 0
		.amdhsa_kernarg_size 48
		.amdhsa_user_sgpr_count 6
		.amdhsa_user_sgpr_private_segment_buffer 1
		.amdhsa_user_sgpr_dispatch_ptr 0
		.amdhsa_user_sgpr_queue_ptr 0
		.amdhsa_user_sgpr_kernarg_segment_ptr 1
		.amdhsa_user_sgpr_dispatch_id 0
		.amdhsa_user_sgpr_flat_scratch_init 0
		.amdhsa_user_sgpr_private_segment_size 0
		.amdhsa_uses_dynamic_stack 0
		.amdhsa_system_sgpr_private_segment_wavefront_offset 0
		.amdhsa_system_sgpr_workgroup_id_x 1
		.amdhsa_system_sgpr_workgroup_id_y 0
		.amdhsa_system_sgpr_workgroup_id_z 0
		.amdhsa_system_sgpr_workgroup_info 0
		.amdhsa_system_vgpr_workitem_id 0
		.amdhsa_next_free_vgpr 13
		.amdhsa_next_free_sgpr 24
		.amdhsa_reserve_vcc 1
		.amdhsa_reserve_flat_scratch 0
		.amdhsa_float_round_mode_32 0
		.amdhsa_float_round_mode_16_64 0
		.amdhsa_float_denorm_mode_32 3
		.amdhsa_float_denorm_mode_16_64 3
		.amdhsa_dx10_clamp 1
		.amdhsa_ieee_mode 1
		.amdhsa_fp16_overflow 0
		.amdhsa_exception_fp_ieee_invalid_op 0
		.amdhsa_exception_fp_denorm_src 0
		.amdhsa_exception_fp_ieee_div_zero 0
		.amdhsa_exception_fp_ieee_overflow 0
		.amdhsa_exception_fp_ieee_underflow 0
		.amdhsa_exception_fp_ieee_inexact 0
		.amdhsa_exception_int_div_zero 0
	.end_amdhsa_kernel
	.text
.Lfunc_end24:
	.size	batched_transpose_4x64_dword, .Lfunc_end24-batched_transpose_4x64_dword
                                        ; -- End function
	.set batched_transpose_4x64_dword.num_vgpr, 13
	.set batched_transpose_4x64_dword.num_agpr, 0
	.set batched_transpose_4x64_dword.numbered_sgpr, 24
	.set batched_transpose_4x64_dword.num_named_barrier, 0
	.set batched_transpose_4x64_dword.private_seg_size, 0
	.set batched_transpose_4x64_dword.uses_vcc, 1
	.set batched_transpose_4x64_dword.uses_flat_scratch, 0
	.set batched_transpose_4x64_dword.has_dyn_sized_stack, 0
	.set batched_transpose_4x64_dword.has_recursion, 0
	.set batched_transpose_4x64_dword.has_indirect_call, 0
	.section	.AMDGPU.csdata,"",@progbits
; Kernel info:
; codeLenInByte = 372
; TotalNumSgprs: 28
; NumVgprs: 13
; ScratchSize: 0
; MemoryBound: 0
; FloatMode: 240
; IeeeMode: 1
; LDSByteSize: 0 bytes/workgroup (compile time only)
; SGPRBlocks: 3
; VGPRBlocks: 3
; NumSGPRsForWavesPerEU: 28
; NumVGPRsForWavesPerEU: 13
; Occupancy: 10
; WaveLimiterHint : 0
; COMPUTE_PGM_RSRC2:SCRATCH_EN: 0
; COMPUTE_PGM_RSRC2:USER_SGPR: 6
; COMPUTE_PGM_RSRC2:TRAP_HANDLER: 0
; COMPUTE_PGM_RSRC2:TGID_X_EN: 1
; COMPUTE_PGM_RSRC2:TGID_Y_EN: 0
; COMPUTE_PGM_RSRC2:TGID_Z_EN: 0
; COMPUTE_PGM_RSRC2:TIDIG_COMP_CNT: 0
	.text
	.protected	batched_transpose_4x64_half ; -- Begin function batched_transpose_4x64_half
	.globl	batched_transpose_4x64_half
	.p2align	8
	.type	batched_transpose_4x64_half,@function
batched_transpose_4x64_half:            ; @batched_transpose_4x64_half
; %bb.0:
	s_load_dwordx8 s[8:15], s[4:5], 0x10
	s_waitcnt lgkmcnt(0)
	s_cmp_ge_u32 s6, s11
	s_cbranch_scc1 .LBB25_7
; %bb.1:
	s_load_dwordx4 s[16:19], s[4:5], 0x0
	s_add_i32 s0, s8, 63
	s_lshr_b32 s4, s0, 6
	s_add_i32 s0, s9, 3
	v_lshrrev_b32_e32 v1, 6, v0
	s_and_b32 s0, s0, -4
	v_and_b32_e32 v4, 63, v0
	s_mov_b32 s5, s9
	s_sub_i32 s7, 0, s0
	v_lshl_or_b32 v5, s6, 2, v1
	s_lshl_b32 s20, s10, 2
	v_mov_b32_e32 v1, 0
                                        ; implicit-def: $vgpr6
	s_branch .LBB25_3
.LBB25_2:                               ;   in Loop: Header=BB25_3 Depth=1
	s_or_b64 exec, exec, s[2:3]
	s_add_i32 s6, s6, s10
	s_cmp_lt_u32 s6, s11
	v_add_u32_e32 v5, s20, v5
	s_cbranch_scc0 .LBB25_7
.LBB25_3:                               ; =>This Inner Loop Header: Depth=1
	s_mul_hi_u32 s0, s14, s6
	s_add_i32 s0, s6, s0
	s_lshr_b32 s0, s0, s15
	s_mul_hi_u32 s1, s0, s12
	s_add_i32 s1, s0, s1
	s_lshr_b32 s21, s1, s13
	s_mul_i32 s1, s21, s4
	s_sub_i32 s1, s0, s1
	s_mul_i32 s0, s7, s0
	v_add_u32_e32 v2, s0, v5
	v_lshl_or_b32 v0, s1, 6, v4
	v_cmp_gt_u32_e32 vcc, s8, v0
	v_cmp_gt_u32_e64 s[0:1], s9, v2
	v_mov_b32_e32 v3, v1
	s_and_b64 s[0:1], s[0:1], vcc
	s_and_saveexec_b64 s[2:3], s[0:1]
	s_cbranch_execz .LBB25_5
; %bb.4:                                ;   in Loop: Header=BB25_3 Depth=1
	s_waitcnt vmcnt(0)
	v_mov_b32_e32 v6, s8
	v_mad_u64_u32 v[6:7], s[22:23], s21, v6, v[0:1]
	s_waitcnt lgkmcnt(0)
	v_mov_b32_e32 v12, s19
	v_lshlrev_b64 v[10:11], 1, v[2:3]
	v_mad_u64_u32 v[8:9], s[22:23], v6, s5, 0
	v_mov_b32_e32 v6, v9
	v_mad_u64_u32 v[6:7], s[22:23], v7, s5, v[6:7]
	v_mov_b32_e32 v9, v6
	v_lshlrev_b64 v[6:7], 1, v[8:9]
	v_add_co_u32_e32 v6, vcc, s18, v6
	v_addc_co_u32_e32 v7, vcc, v12, v7, vcc
	v_add_co_u32_e32 v6, vcc, v6, v10
	v_addc_co_u32_e32 v7, vcc, v7, v11, vcc
	global_load_ushort v6, v[6:7], off
.LBB25_5:                               ;   in Loop: Header=BB25_3 Depth=1
	s_or_b64 exec, exec, s[2:3]
	s_and_saveexec_b64 s[2:3], s[0:1]
	s_cbranch_execz .LBB25_2
; %bb.6:                                ;   in Loop: Header=BB25_3 Depth=1
	v_mov_b32_e32 v7, s5
	v_mad_u64_u32 v[2:3], s[0:1], s21, v7, v[2:3]
	s_waitcnt lgkmcnt(0)
	v_mov_b32_e32 v11, s17
	v_lshlrev_b64 v[9:10], 1, v[0:1]
	v_mad_u64_u32 v[7:8], s[0:1], v2, s8, 0
	v_mov_b32_e32 v2, v8
	v_mad_u64_u32 v[2:3], s[0:1], v3, s8, v[2:3]
	v_mov_b32_e32 v8, v2
	v_lshlrev_b64 v[2:3], 1, v[7:8]
	v_add_co_u32_e32 v0, vcc, s16, v2
	v_addc_co_u32_e32 v3, vcc, v11, v3, vcc
	v_add_co_u32_e32 v2, vcc, v0, v9
	v_addc_co_u32_e32 v3, vcc, v3, v10, vcc
	s_waitcnt vmcnt(0)
	global_store_short v[2:3], v6, off
	s_branch .LBB25_2
.LBB25_7:
	s_endpgm
	.section	.rodata,"a",@progbits
	.p2align	6, 0x0
	.amdhsa_kernel batched_transpose_4x64_half
		.amdhsa_group_segment_fixed_size 0
		.amdhsa_private_segment_fixed_size 0
		.amdhsa_kernarg_size 48
		.amdhsa_user_sgpr_count 6
		.amdhsa_user_sgpr_private_segment_buffer 1
		.amdhsa_user_sgpr_dispatch_ptr 0
		.amdhsa_user_sgpr_queue_ptr 0
		.amdhsa_user_sgpr_kernarg_segment_ptr 1
		.amdhsa_user_sgpr_dispatch_id 0
		.amdhsa_user_sgpr_flat_scratch_init 0
		.amdhsa_user_sgpr_private_segment_size 0
		.amdhsa_uses_dynamic_stack 0
		.amdhsa_system_sgpr_private_segment_wavefront_offset 0
		.amdhsa_system_sgpr_workgroup_id_x 1
		.amdhsa_system_sgpr_workgroup_id_y 0
		.amdhsa_system_sgpr_workgroup_id_z 0
		.amdhsa_system_sgpr_workgroup_info 0
		.amdhsa_system_vgpr_workitem_id 0
		.amdhsa_next_free_vgpr 13
		.amdhsa_next_free_sgpr 24
		.amdhsa_reserve_vcc 1
		.amdhsa_reserve_flat_scratch 0
		.amdhsa_float_round_mode_32 0
		.amdhsa_float_round_mode_16_64 0
		.amdhsa_float_denorm_mode_32 3
		.amdhsa_float_denorm_mode_16_64 3
		.amdhsa_dx10_clamp 1
		.amdhsa_ieee_mode 1
		.amdhsa_fp16_overflow 0
		.amdhsa_exception_fp_ieee_invalid_op 0
		.amdhsa_exception_fp_denorm_src 0
		.amdhsa_exception_fp_ieee_div_zero 0
		.amdhsa_exception_fp_ieee_overflow 0
		.amdhsa_exception_fp_ieee_underflow 0
		.amdhsa_exception_fp_ieee_inexact 0
		.amdhsa_exception_int_div_zero 0
	.end_amdhsa_kernel
	.text
.Lfunc_end25:
	.size	batched_transpose_4x64_half, .Lfunc_end25-batched_transpose_4x64_half
                                        ; -- End function
	.set batched_transpose_4x64_half.num_vgpr, 13
	.set batched_transpose_4x64_half.num_agpr, 0
	.set batched_transpose_4x64_half.numbered_sgpr, 24
	.set batched_transpose_4x64_half.num_named_barrier, 0
	.set batched_transpose_4x64_half.private_seg_size, 0
	.set batched_transpose_4x64_half.uses_vcc, 1
	.set batched_transpose_4x64_half.uses_flat_scratch, 0
	.set batched_transpose_4x64_half.has_dyn_sized_stack, 0
	.set batched_transpose_4x64_half.has_recursion, 0
	.set batched_transpose_4x64_half.has_indirect_call, 0
	.section	.AMDGPU.csdata,"",@progbits
; Kernel info:
; codeLenInByte = 372
; TotalNumSgprs: 28
; NumVgprs: 13
; ScratchSize: 0
; MemoryBound: 0
; FloatMode: 240
; IeeeMode: 1
; LDSByteSize: 0 bytes/workgroup (compile time only)
; SGPRBlocks: 3
; VGPRBlocks: 3
; NumSGPRsForWavesPerEU: 28
; NumVGPRsForWavesPerEU: 13
; Occupancy: 10
; WaveLimiterHint : 0
; COMPUTE_PGM_RSRC2:SCRATCH_EN: 0
; COMPUTE_PGM_RSRC2:USER_SGPR: 6
; COMPUTE_PGM_RSRC2:TRAP_HANDLER: 0
; COMPUTE_PGM_RSRC2:TGID_X_EN: 1
; COMPUTE_PGM_RSRC2:TGID_Y_EN: 0
; COMPUTE_PGM_RSRC2:TGID_Z_EN: 0
; COMPUTE_PGM_RSRC2:TIDIG_COMP_CNT: 0
	.text
	.protected	batched_transpose_4x64_byte ; -- Begin function batched_transpose_4x64_byte
	.globl	batched_transpose_4x64_byte
	.p2align	8
	.type	batched_transpose_4x64_byte,@function
batched_transpose_4x64_byte:            ; @batched_transpose_4x64_byte
; %bb.0:
	s_load_dwordx8 s[8:15], s[4:5], 0x10
	s_waitcnt lgkmcnt(0)
	s_cmp_ge_u32 s6, s11
	s_cbranch_scc1 .LBB26_7
; %bb.1:
	s_load_dwordx4 s[16:19], s[4:5], 0x0
	s_add_i32 s0, s8, 63
	s_lshr_b32 s4, s0, 6
	s_add_i32 s0, s9, 3
	v_lshrrev_b32_e32 v1, 6, v0
	s_and_b32 s0, s0, -4
	v_and_b32_e32 v4, 63, v0
	s_mov_b32 s5, s9
	s_sub_i32 s7, 0, s0
	v_lshl_or_b32 v5, s6, 2, v1
	s_lshl_b32 s20, s10, 2
	v_mov_b32_e32 v1, 0
                                        ; implicit-def: $vgpr6
	s_branch .LBB26_3
.LBB26_2:                               ;   in Loop: Header=BB26_3 Depth=1
	s_or_b64 exec, exec, s[2:3]
	s_add_i32 s6, s6, s10
	s_cmp_lt_u32 s6, s11
	v_add_u32_e32 v5, s20, v5
	s_cbranch_scc0 .LBB26_7
.LBB26_3:                               ; =>This Inner Loop Header: Depth=1
	s_mul_hi_u32 s0, s14, s6
	s_add_i32 s0, s6, s0
	s_lshr_b32 s0, s0, s15
	s_mul_hi_u32 s1, s0, s12
	s_add_i32 s1, s0, s1
	s_lshr_b32 s21, s1, s13
	s_mul_i32 s1, s21, s4
	s_sub_i32 s1, s0, s1
	s_mul_i32 s0, s7, s0
	v_add_u32_e32 v2, s0, v5
	v_lshl_or_b32 v0, s1, 6, v4
	v_cmp_gt_u32_e32 vcc, s8, v0
	v_cmp_gt_u32_e64 s[0:1], s9, v2
	v_mov_b32_e32 v3, v1
	s_and_b64 s[0:1], s[0:1], vcc
	s_and_saveexec_b64 s[2:3], s[0:1]
	s_cbranch_execz .LBB26_5
; %bb.4:                                ;   in Loop: Header=BB26_3 Depth=1
	s_waitcnt vmcnt(0)
	v_mov_b32_e32 v6, s8
	v_mad_u64_u32 v[6:7], s[22:23], s21, v6, v[0:1]
	s_waitcnt lgkmcnt(0)
	v_mov_b32_e32 v8, s18
	v_mov_b32_e32 v9, s19
	v_mad_u64_u32 v[8:9], s[22:23], v6, s5, v[8:9]
	v_mov_b32_e32 v6, v9
	v_mad_u64_u32 v[6:7], s[22:23], v7, s5, v[6:7]
	v_add_co_u32_e32 v7, vcc, v8, v2
	v_addc_co_u32_e32 v8, vcc, 0, v6, vcc
	global_load_ubyte v6, v[7:8], off
.LBB26_5:                               ;   in Loop: Header=BB26_3 Depth=1
	s_or_b64 exec, exec, s[2:3]
	s_and_saveexec_b64 s[2:3], s[0:1]
	s_cbranch_execz .LBB26_2
; %bb.6:                                ;   in Loop: Header=BB26_3 Depth=1
	v_mov_b32_e32 v7, s5
	v_mad_u64_u32 v[2:3], s[0:1], s21, v7, v[2:3]
	s_waitcnt lgkmcnt(0)
	v_mov_b32_e32 v7, s16
	v_mov_b32_e32 v8, s17
	v_mad_u64_u32 v[7:8], s[0:1], v2, s8, v[7:8]
	v_mov_b32_e32 v2, v8
	v_mad_u64_u32 v[2:3], s[0:1], v3, s8, v[2:3]
	v_add_co_u32_e32 v7, vcc, v7, v0
	v_addc_co_u32_e32 v8, vcc, 0, v2, vcc
	s_waitcnt vmcnt(0)
	global_store_byte v[7:8], v6, off
	s_branch .LBB26_2
.LBB26_7:
	s_endpgm
	.section	.rodata,"a",@progbits
	.p2align	6, 0x0
	.amdhsa_kernel batched_transpose_4x64_byte
		.amdhsa_group_segment_fixed_size 0
		.amdhsa_private_segment_fixed_size 0
		.amdhsa_kernarg_size 48
		.amdhsa_user_sgpr_count 6
		.amdhsa_user_sgpr_private_segment_buffer 1
		.amdhsa_user_sgpr_dispatch_ptr 0
		.amdhsa_user_sgpr_queue_ptr 0
		.amdhsa_user_sgpr_kernarg_segment_ptr 1
		.amdhsa_user_sgpr_dispatch_id 0
		.amdhsa_user_sgpr_flat_scratch_init 0
		.amdhsa_user_sgpr_private_segment_size 0
		.amdhsa_uses_dynamic_stack 0
		.amdhsa_system_sgpr_private_segment_wavefront_offset 0
		.amdhsa_system_sgpr_workgroup_id_x 1
		.amdhsa_system_sgpr_workgroup_id_y 0
		.amdhsa_system_sgpr_workgroup_id_z 0
		.amdhsa_system_sgpr_workgroup_info 0
		.amdhsa_system_vgpr_workitem_id 0
		.amdhsa_next_free_vgpr 10
		.amdhsa_next_free_sgpr 24
		.amdhsa_reserve_vcc 1
		.amdhsa_reserve_flat_scratch 0
		.amdhsa_float_round_mode_32 0
		.amdhsa_float_round_mode_16_64 0
		.amdhsa_float_denorm_mode_32 3
		.amdhsa_float_denorm_mode_16_64 3
		.amdhsa_dx10_clamp 1
		.amdhsa_ieee_mode 1
		.amdhsa_fp16_overflow 0
		.amdhsa_exception_fp_ieee_invalid_op 0
		.amdhsa_exception_fp_denorm_src 0
		.amdhsa_exception_fp_ieee_div_zero 0
		.amdhsa_exception_fp_ieee_overflow 0
		.amdhsa_exception_fp_ieee_underflow 0
		.amdhsa_exception_fp_ieee_inexact 0
		.amdhsa_exception_int_div_zero 0
	.end_amdhsa_kernel
	.text
.Lfunc_end26:
	.size	batched_transpose_4x64_byte, .Lfunc_end26-batched_transpose_4x64_byte
                                        ; -- End function
	.set batched_transpose_4x64_byte.num_vgpr, 10
	.set batched_transpose_4x64_byte.num_agpr, 0
	.set batched_transpose_4x64_byte.numbered_sgpr, 24
	.set batched_transpose_4x64_byte.num_named_barrier, 0
	.set batched_transpose_4x64_byte.private_seg_size, 0
	.set batched_transpose_4x64_byte.uses_vcc, 1
	.set batched_transpose_4x64_byte.uses_flat_scratch, 0
	.set batched_transpose_4x64_byte.has_dyn_sized_stack, 0
	.set batched_transpose_4x64_byte.has_recursion, 0
	.set batched_transpose_4x64_byte.has_indirect_call, 0
	.section	.AMDGPU.csdata,"",@progbits
; Kernel info:
; codeLenInByte = 324
; TotalNumSgprs: 28
; NumVgprs: 10
; ScratchSize: 0
; MemoryBound: 0
; FloatMode: 240
; IeeeMode: 1
; LDSByteSize: 0 bytes/workgroup (compile time only)
; SGPRBlocks: 3
; VGPRBlocks: 2
; NumSGPRsForWavesPerEU: 28
; NumVGPRsForWavesPerEU: 10
; Occupancy: 10
; WaveLimiterHint : 0
; COMPUTE_PGM_RSRC2:SCRATCH_EN: 0
; COMPUTE_PGM_RSRC2:USER_SGPR: 6
; COMPUTE_PGM_RSRC2:TRAP_HANDLER: 0
; COMPUTE_PGM_RSRC2:TGID_X_EN: 1
; COMPUTE_PGM_RSRC2:TGID_Y_EN: 0
; COMPUTE_PGM_RSRC2:TGID_Z_EN: 0
; COMPUTE_PGM_RSRC2:TIDIG_COMP_CNT: 0
	.text
	.protected	batched_transpose_64x4_dword ; -- Begin function batched_transpose_64x4_dword
	.globl	batched_transpose_64x4_dword
	.p2align	8
	.type	batched_transpose_64x4_dword,@function
batched_transpose_64x4_dword:           ; @batched_transpose_64x4_dword
; %bb.0:
	s_load_dwordx8 s[8:15], s[4:5], 0x10
	s_waitcnt lgkmcnt(0)
	s_cmp_ge_u32 s6, s11
	s_cbranch_scc1 .LBB27_7
; %bb.1:
	s_load_dwordx4 s[16:19], s[4:5], 0x0
	s_add_i32 s0, s8, 3
	s_lshr_b32 s4, s0, 2
	s_add_i32 s0, s9, 63
	v_and_b32_e32 v1, 63, v0
	s_andn2_b32 s0, s0, 63
	v_lshrrev_b32_e32 v4, 6, v0
	s_mov_b32 s5, s9
	s_sub_i32 s7, 0, s0
	v_lshl_or_b32 v5, s6, 6, v1
	s_lshl_b32 s20, s10, 6
	v_mov_b32_e32 v1, 0
                                        ; implicit-def: $vgpr6
	s_branch .LBB27_3
.LBB27_2:                               ;   in Loop: Header=BB27_3 Depth=1
	s_or_b64 exec, exec, s[2:3]
	s_add_i32 s6, s6, s10
	s_cmp_lt_u32 s6, s11
	v_add_u32_e32 v5, s20, v5
	s_cbranch_scc0 .LBB27_7
.LBB27_3:                               ; =>This Inner Loop Header: Depth=1
	s_mul_hi_u32 s0, s14, s6
	s_add_i32 s0, s6, s0
	s_lshr_b32 s0, s0, s15
	s_mul_hi_u32 s1, s0, s12
	s_add_i32 s1, s0, s1
	s_lshr_b32 s21, s1, s13
	s_mul_i32 s1, s21, s4
	s_sub_i32 s1, s0, s1
	s_mul_i32 s0, s7, s0
	v_add_u32_e32 v2, s0, v5
	v_lshl_or_b32 v0, s1, 2, v4
	v_cmp_gt_u32_e32 vcc, s8, v0
	v_cmp_gt_u32_e64 s[0:1], s9, v2
	v_mov_b32_e32 v3, v1
	s_and_b64 s[0:1], vcc, s[0:1]
	s_and_saveexec_b64 s[2:3], s[0:1]
	s_cbranch_execz .LBB27_5
; %bb.4:                                ;   in Loop: Header=BB27_3 Depth=1
	s_waitcnt vmcnt(0)
	v_mov_b32_e32 v6, s8
	v_mad_u64_u32 v[6:7], s[22:23], s21, v6, v[0:1]
	s_waitcnt lgkmcnt(0)
	v_mov_b32_e32 v12, s19
	v_lshlrev_b64 v[10:11], 2, v[2:3]
	v_mad_u64_u32 v[8:9], s[22:23], v6, s5, 0
	v_mov_b32_e32 v6, v9
	v_mad_u64_u32 v[6:7], s[22:23], v7, s5, v[6:7]
	v_mov_b32_e32 v9, v6
	v_lshlrev_b64 v[6:7], 2, v[8:9]
	v_add_co_u32_e32 v6, vcc, s18, v6
	v_addc_co_u32_e32 v7, vcc, v12, v7, vcc
	v_add_co_u32_e32 v6, vcc, v6, v10
	v_addc_co_u32_e32 v7, vcc, v7, v11, vcc
	global_load_dword v6, v[6:7], off
.LBB27_5:                               ;   in Loop: Header=BB27_3 Depth=1
	s_or_b64 exec, exec, s[2:3]
	s_and_saveexec_b64 s[2:3], s[0:1]
	s_cbranch_execz .LBB27_2
; %bb.6:                                ;   in Loop: Header=BB27_3 Depth=1
	v_mov_b32_e32 v7, s5
	v_mad_u64_u32 v[2:3], s[0:1], s21, v7, v[2:3]
	s_waitcnt lgkmcnt(0)
	v_mov_b32_e32 v11, s17
	v_lshlrev_b64 v[9:10], 2, v[0:1]
	v_mad_u64_u32 v[7:8], s[0:1], v2, s8, 0
	v_mov_b32_e32 v2, v8
	v_mad_u64_u32 v[2:3], s[0:1], v3, s8, v[2:3]
	v_mov_b32_e32 v8, v2
	v_lshlrev_b64 v[2:3], 2, v[7:8]
	v_add_co_u32_e32 v0, vcc, s16, v2
	v_addc_co_u32_e32 v3, vcc, v11, v3, vcc
	v_add_co_u32_e32 v2, vcc, v0, v9
	v_addc_co_u32_e32 v3, vcc, v3, v10, vcc
	s_waitcnt vmcnt(0)
	global_store_dword v[2:3], v6, off
	s_branch .LBB27_2
.LBB27_7:
	s_endpgm
	.section	.rodata,"a",@progbits
	.p2align	6, 0x0
	.amdhsa_kernel batched_transpose_64x4_dword
		.amdhsa_group_segment_fixed_size 0
		.amdhsa_private_segment_fixed_size 0
		.amdhsa_kernarg_size 48
		.amdhsa_user_sgpr_count 6
		.amdhsa_user_sgpr_private_segment_buffer 1
		.amdhsa_user_sgpr_dispatch_ptr 0
		.amdhsa_user_sgpr_queue_ptr 0
		.amdhsa_user_sgpr_kernarg_segment_ptr 1
		.amdhsa_user_sgpr_dispatch_id 0
		.amdhsa_user_sgpr_flat_scratch_init 0
		.amdhsa_user_sgpr_private_segment_size 0
		.amdhsa_uses_dynamic_stack 0
		.amdhsa_system_sgpr_private_segment_wavefront_offset 0
		.amdhsa_system_sgpr_workgroup_id_x 1
		.amdhsa_system_sgpr_workgroup_id_y 0
		.amdhsa_system_sgpr_workgroup_id_z 0
		.amdhsa_system_sgpr_workgroup_info 0
		.amdhsa_system_vgpr_workitem_id 0
		.amdhsa_next_free_vgpr 13
		.amdhsa_next_free_sgpr 24
		.amdhsa_reserve_vcc 1
		.amdhsa_reserve_flat_scratch 0
		.amdhsa_float_round_mode_32 0
		.amdhsa_float_round_mode_16_64 0
		.amdhsa_float_denorm_mode_32 3
		.amdhsa_float_denorm_mode_16_64 3
		.amdhsa_dx10_clamp 1
		.amdhsa_ieee_mode 1
		.amdhsa_fp16_overflow 0
		.amdhsa_exception_fp_ieee_invalid_op 0
		.amdhsa_exception_fp_denorm_src 0
		.amdhsa_exception_fp_ieee_div_zero 0
		.amdhsa_exception_fp_ieee_overflow 0
		.amdhsa_exception_fp_ieee_underflow 0
		.amdhsa_exception_fp_ieee_inexact 0
		.amdhsa_exception_int_div_zero 0
	.end_amdhsa_kernel
	.text
.Lfunc_end27:
	.size	batched_transpose_64x4_dword, .Lfunc_end27-batched_transpose_64x4_dword
                                        ; -- End function
	.set batched_transpose_64x4_dword.num_vgpr, 13
	.set batched_transpose_64x4_dword.num_agpr, 0
	.set batched_transpose_64x4_dword.numbered_sgpr, 24
	.set batched_transpose_64x4_dword.num_named_barrier, 0
	.set batched_transpose_64x4_dword.private_seg_size, 0
	.set batched_transpose_64x4_dword.uses_vcc, 1
	.set batched_transpose_64x4_dword.uses_flat_scratch, 0
	.set batched_transpose_64x4_dword.has_dyn_sized_stack, 0
	.set batched_transpose_64x4_dword.has_recursion, 0
	.set batched_transpose_64x4_dword.has_indirect_call, 0
	.section	.AMDGPU.csdata,"",@progbits
; Kernel info:
; codeLenInByte = 372
; TotalNumSgprs: 28
; NumVgprs: 13
; ScratchSize: 0
; MemoryBound: 0
; FloatMode: 240
; IeeeMode: 1
; LDSByteSize: 0 bytes/workgroup (compile time only)
; SGPRBlocks: 3
; VGPRBlocks: 3
; NumSGPRsForWavesPerEU: 28
; NumVGPRsForWavesPerEU: 13
; Occupancy: 10
; WaveLimiterHint : 0
; COMPUTE_PGM_RSRC2:SCRATCH_EN: 0
; COMPUTE_PGM_RSRC2:USER_SGPR: 6
; COMPUTE_PGM_RSRC2:TRAP_HANDLER: 0
; COMPUTE_PGM_RSRC2:TGID_X_EN: 1
; COMPUTE_PGM_RSRC2:TGID_Y_EN: 0
; COMPUTE_PGM_RSRC2:TGID_Z_EN: 0
; COMPUTE_PGM_RSRC2:TIDIG_COMP_CNT: 0
	.text
	.protected	batched_transpose_64x4_half ; -- Begin function batched_transpose_64x4_half
	.globl	batched_transpose_64x4_half
	.p2align	8
	.type	batched_transpose_64x4_half,@function
batched_transpose_64x4_half:            ; @batched_transpose_64x4_half
; %bb.0:
	s_load_dwordx8 s[8:15], s[4:5], 0x10
	s_waitcnt lgkmcnt(0)
	s_cmp_ge_u32 s6, s11
	s_cbranch_scc1 .LBB28_7
; %bb.1:
	s_load_dwordx4 s[16:19], s[4:5], 0x0
	s_add_i32 s0, s8, 3
	s_lshr_b32 s4, s0, 2
	s_add_i32 s0, s9, 63
	v_and_b32_e32 v1, 63, v0
	s_andn2_b32 s0, s0, 63
	v_lshrrev_b32_e32 v4, 6, v0
	s_mov_b32 s5, s9
	s_sub_i32 s7, 0, s0
	v_lshl_or_b32 v5, s6, 6, v1
	s_lshl_b32 s20, s10, 6
	v_mov_b32_e32 v1, 0
                                        ; implicit-def: $vgpr6
	s_branch .LBB28_3
.LBB28_2:                               ;   in Loop: Header=BB28_3 Depth=1
	s_or_b64 exec, exec, s[2:3]
	s_add_i32 s6, s6, s10
	s_cmp_lt_u32 s6, s11
	v_add_u32_e32 v5, s20, v5
	s_cbranch_scc0 .LBB28_7
.LBB28_3:                               ; =>This Inner Loop Header: Depth=1
	s_mul_hi_u32 s0, s14, s6
	s_add_i32 s0, s6, s0
	s_lshr_b32 s0, s0, s15
	s_mul_hi_u32 s1, s0, s12
	s_add_i32 s1, s0, s1
	s_lshr_b32 s21, s1, s13
	s_mul_i32 s1, s21, s4
	s_sub_i32 s1, s0, s1
	s_mul_i32 s0, s7, s0
	v_add_u32_e32 v2, s0, v5
	v_lshl_or_b32 v0, s1, 2, v4
	v_cmp_gt_u32_e32 vcc, s8, v0
	v_cmp_gt_u32_e64 s[0:1], s9, v2
	v_mov_b32_e32 v3, v1
	s_and_b64 s[0:1], vcc, s[0:1]
	s_and_saveexec_b64 s[2:3], s[0:1]
	s_cbranch_execz .LBB28_5
; %bb.4:                                ;   in Loop: Header=BB28_3 Depth=1
	s_waitcnt vmcnt(0)
	v_mov_b32_e32 v6, s8
	v_mad_u64_u32 v[6:7], s[22:23], s21, v6, v[0:1]
	s_waitcnt lgkmcnt(0)
	v_mov_b32_e32 v12, s19
	v_lshlrev_b64 v[10:11], 1, v[2:3]
	v_mad_u64_u32 v[8:9], s[22:23], v6, s5, 0
	v_mov_b32_e32 v6, v9
	v_mad_u64_u32 v[6:7], s[22:23], v7, s5, v[6:7]
	v_mov_b32_e32 v9, v6
	v_lshlrev_b64 v[6:7], 1, v[8:9]
	v_add_co_u32_e32 v6, vcc, s18, v6
	v_addc_co_u32_e32 v7, vcc, v12, v7, vcc
	v_add_co_u32_e32 v6, vcc, v6, v10
	v_addc_co_u32_e32 v7, vcc, v7, v11, vcc
	global_load_ushort v6, v[6:7], off
.LBB28_5:                               ;   in Loop: Header=BB28_3 Depth=1
	s_or_b64 exec, exec, s[2:3]
	s_and_saveexec_b64 s[2:3], s[0:1]
	s_cbranch_execz .LBB28_2
; %bb.6:                                ;   in Loop: Header=BB28_3 Depth=1
	v_mov_b32_e32 v7, s5
	v_mad_u64_u32 v[2:3], s[0:1], s21, v7, v[2:3]
	s_waitcnt lgkmcnt(0)
	v_mov_b32_e32 v11, s17
	v_lshlrev_b64 v[9:10], 1, v[0:1]
	v_mad_u64_u32 v[7:8], s[0:1], v2, s8, 0
	v_mov_b32_e32 v2, v8
	v_mad_u64_u32 v[2:3], s[0:1], v3, s8, v[2:3]
	v_mov_b32_e32 v8, v2
	v_lshlrev_b64 v[2:3], 1, v[7:8]
	v_add_co_u32_e32 v0, vcc, s16, v2
	v_addc_co_u32_e32 v3, vcc, v11, v3, vcc
	v_add_co_u32_e32 v2, vcc, v0, v9
	v_addc_co_u32_e32 v3, vcc, v3, v10, vcc
	s_waitcnt vmcnt(0)
	global_store_short v[2:3], v6, off
	s_branch .LBB28_2
.LBB28_7:
	s_endpgm
	.section	.rodata,"a",@progbits
	.p2align	6, 0x0
	.amdhsa_kernel batched_transpose_64x4_half
		.amdhsa_group_segment_fixed_size 0
		.amdhsa_private_segment_fixed_size 0
		.amdhsa_kernarg_size 48
		.amdhsa_user_sgpr_count 6
		.amdhsa_user_sgpr_private_segment_buffer 1
		.amdhsa_user_sgpr_dispatch_ptr 0
		.amdhsa_user_sgpr_queue_ptr 0
		.amdhsa_user_sgpr_kernarg_segment_ptr 1
		.amdhsa_user_sgpr_dispatch_id 0
		.amdhsa_user_sgpr_flat_scratch_init 0
		.amdhsa_user_sgpr_private_segment_size 0
		.amdhsa_uses_dynamic_stack 0
		.amdhsa_system_sgpr_private_segment_wavefront_offset 0
		.amdhsa_system_sgpr_workgroup_id_x 1
		.amdhsa_system_sgpr_workgroup_id_y 0
		.amdhsa_system_sgpr_workgroup_id_z 0
		.amdhsa_system_sgpr_workgroup_info 0
		.amdhsa_system_vgpr_workitem_id 0
		.amdhsa_next_free_vgpr 13
		.amdhsa_next_free_sgpr 24
		.amdhsa_reserve_vcc 1
		.amdhsa_reserve_flat_scratch 0
		.amdhsa_float_round_mode_32 0
		.amdhsa_float_round_mode_16_64 0
		.amdhsa_float_denorm_mode_32 3
		.amdhsa_float_denorm_mode_16_64 3
		.amdhsa_dx10_clamp 1
		.amdhsa_ieee_mode 1
		.amdhsa_fp16_overflow 0
		.amdhsa_exception_fp_ieee_invalid_op 0
		.amdhsa_exception_fp_denorm_src 0
		.amdhsa_exception_fp_ieee_div_zero 0
		.amdhsa_exception_fp_ieee_overflow 0
		.amdhsa_exception_fp_ieee_underflow 0
		.amdhsa_exception_fp_ieee_inexact 0
		.amdhsa_exception_int_div_zero 0
	.end_amdhsa_kernel
	.text
.Lfunc_end28:
	.size	batched_transpose_64x4_half, .Lfunc_end28-batched_transpose_64x4_half
                                        ; -- End function
	.set batched_transpose_64x4_half.num_vgpr, 13
	.set batched_transpose_64x4_half.num_agpr, 0
	.set batched_transpose_64x4_half.numbered_sgpr, 24
	.set batched_transpose_64x4_half.num_named_barrier, 0
	.set batched_transpose_64x4_half.private_seg_size, 0
	.set batched_transpose_64x4_half.uses_vcc, 1
	.set batched_transpose_64x4_half.uses_flat_scratch, 0
	.set batched_transpose_64x4_half.has_dyn_sized_stack, 0
	.set batched_transpose_64x4_half.has_recursion, 0
	.set batched_transpose_64x4_half.has_indirect_call, 0
	.section	.AMDGPU.csdata,"",@progbits
; Kernel info:
; codeLenInByte = 372
; TotalNumSgprs: 28
; NumVgprs: 13
; ScratchSize: 0
; MemoryBound: 0
; FloatMode: 240
; IeeeMode: 1
; LDSByteSize: 0 bytes/workgroup (compile time only)
; SGPRBlocks: 3
; VGPRBlocks: 3
; NumSGPRsForWavesPerEU: 28
; NumVGPRsForWavesPerEU: 13
; Occupancy: 10
; WaveLimiterHint : 0
; COMPUTE_PGM_RSRC2:SCRATCH_EN: 0
; COMPUTE_PGM_RSRC2:USER_SGPR: 6
; COMPUTE_PGM_RSRC2:TRAP_HANDLER: 0
; COMPUTE_PGM_RSRC2:TGID_X_EN: 1
; COMPUTE_PGM_RSRC2:TGID_Y_EN: 0
; COMPUTE_PGM_RSRC2:TGID_Z_EN: 0
; COMPUTE_PGM_RSRC2:TIDIG_COMP_CNT: 0
	.text
	.protected	batched_transpose_64x4_byte ; -- Begin function batched_transpose_64x4_byte
	.globl	batched_transpose_64x4_byte
	.p2align	8
	.type	batched_transpose_64x4_byte,@function
batched_transpose_64x4_byte:            ; @batched_transpose_64x4_byte
; %bb.0:
	s_load_dwordx8 s[8:15], s[4:5], 0x10
	s_waitcnt lgkmcnt(0)
	s_cmp_ge_u32 s6, s11
	s_cbranch_scc1 .LBB29_7
; %bb.1:
	s_load_dwordx4 s[16:19], s[4:5], 0x0
	s_add_i32 s0, s8, 3
	s_lshr_b32 s4, s0, 2
	s_add_i32 s0, s9, 63
	v_and_b32_e32 v1, 63, v0
	s_andn2_b32 s0, s0, 63
	v_lshrrev_b32_e32 v4, 6, v0
	s_mov_b32 s5, s9
	s_sub_i32 s7, 0, s0
	v_lshl_or_b32 v5, s6, 6, v1
	s_lshl_b32 s20, s10, 6
	v_mov_b32_e32 v1, 0
                                        ; implicit-def: $vgpr6
	s_branch .LBB29_3
.LBB29_2:                               ;   in Loop: Header=BB29_3 Depth=1
	s_or_b64 exec, exec, s[2:3]
	s_add_i32 s6, s6, s10
	s_cmp_lt_u32 s6, s11
	v_add_u32_e32 v5, s20, v5
	s_cbranch_scc0 .LBB29_7
.LBB29_3:                               ; =>This Inner Loop Header: Depth=1
	s_mul_hi_u32 s0, s14, s6
	s_add_i32 s0, s6, s0
	s_lshr_b32 s0, s0, s15
	s_mul_hi_u32 s1, s0, s12
	s_add_i32 s1, s0, s1
	s_lshr_b32 s21, s1, s13
	s_mul_i32 s1, s21, s4
	s_sub_i32 s1, s0, s1
	s_mul_i32 s0, s7, s0
	v_add_u32_e32 v2, s0, v5
	v_lshl_or_b32 v0, s1, 2, v4
	v_cmp_gt_u32_e32 vcc, s8, v0
	v_cmp_gt_u32_e64 s[0:1], s9, v2
	v_mov_b32_e32 v3, v1
	s_and_b64 s[0:1], vcc, s[0:1]
	s_and_saveexec_b64 s[2:3], s[0:1]
	s_cbranch_execz .LBB29_5
; %bb.4:                                ;   in Loop: Header=BB29_3 Depth=1
	s_waitcnt vmcnt(0)
	v_mov_b32_e32 v6, s8
	v_mad_u64_u32 v[6:7], s[22:23], s21, v6, v[0:1]
	s_waitcnt lgkmcnt(0)
	v_mov_b32_e32 v8, s18
	v_mov_b32_e32 v9, s19
	v_mad_u64_u32 v[8:9], s[22:23], v6, s5, v[8:9]
	v_mov_b32_e32 v6, v9
	v_mad_u64_u32 v[6:7], s[22:23], v7, s5, v[6:7]
	v_add_co_u32_e32 v7, vcc, v8, v2
	v_addc_co_u32_e32 v8, vcc, 0, v6, vcc
	global_load_ubyte v6, v[7:8], off
.LBB29_5:                               ;   in Loop: Header=BB29_3 Depth=1
	s_or_b64 exec, exec, s[2:3]
	s_and_saveexec_b64 s[2:3], s[0:1]
	s_cbranch_execz .LBB29_2
; %bb.6:                                ;   in Loop: Header=BB29_3 Depth=1
	v_mov_b32_e32 v7, s5
	v_mad_u64_u32 v[2:3], s[0:1], s21, v7, v[2:3]
	s_waitcnt lgkmcnt(0)
	v_mov_b32_e32 v7, s16
	v_mov_b32_e32 v8, s17
	v_mad_u64_u32 v[7:8], s[0:1], v2, s8, v[7:8]
	v_mov_b32_e32 v2, v8
	v_mad_u64_u32 v[2:3], s[0:1], v3, s8, v[2:3]
	v_add_co_u32_e32 v7, vcc, v7, v0
	v_addc_co_u32_e32 v8, vcc, 0, v2, vcc
	s_waitcnt vmcnt(0)
	global_store_byte v[7:8], v6, off
	s_branch .LBB29_2
.LBB29_7:
	s_endpgm
	.section	.rodata,"a",@progbits
	.p2align	6, 0x0
	.amdhsa_kernel batched_transpose_64x4_byte
		.amdhsa_group_segment_fixed_size 0
		.amdhsa_private_segment_fixed_size 0
		.amdhsa_kernarg_size 48
		.amdhsa_user_sgpr_count 6
		.amdhsa_user_sgpr_private_segment_buffer 1
		.amdhsa_user_sgpr_dispatch_ptr 0
		.amdhsa_user_sgpr_queue_ptr 0
		.amdhsa_user_sgpr_kernarg_segment_ptr 1
		.amdhsa_user_sgpr_dispatch_id 0
		.amdhsa_user_sgpr_flat_scratch_init 0
		.amdhsa_user_sgpr_private_segment_size 0
		.amdhsa_uses_dynamic_stack 0
		.amdhsa_system_sgpr_private_segment_wavefront_offset 0
		.amdhsa_system_sgpr_workgroup_id_x 1
		.amdhsa_system_sgpr_workgroup_id_y 0
		.amdhsa_system_sgpr_workgroup_id_z 0
		.amdhsa_system_sgpr_workgroup_info 0
		.amdhsa_system_vgpr_workitem_id 0
		.amdhsa_next_free_vgpr 10
		.amdhsa_next_free_sgpr 24
		.amdhsa_reserve_vcc 1
		.amdhsa_reserve_flat_scratch 0
		.amdhsa_float_round_mode_32 0
		.amdhsa_float_round_mode_16_64 0
		.amdhsa_float_denorm_mode_32 3
		.amdhsa_float_denorm_mode_16_64 3
		.amdhsa_dx10_clamp 1
		.amdhsa_ieee_mode 1
		.amdhsa_fp16_overflow 0
		.amdhsa_exception_fp_ieee_invalid_op 0
		.amdhsa_exception_fp_denorm_src 0
		.amdhsa_exception_fp_ieee_div_zero 0
		.amdhsa_exception_fp_ieee_overflow 0
		.amdhsa_exception_fp_ieee_underflow 0
		.amdhsa_exception_fp_ieee_inexact 0
		.amdhsa_exception_int_div_zero 0
	.end_amdhsa_kernel
	.text
.Lfunc_end29:
	.size	batched_transpose_64x4_byte, .Lfunc_end29-batched_transpose_64x4_byte
                                        ; -- End function
	.set batched_transpose_64x4_byte.num_vgpr, 10
	.set batched_transpose_64x4_byte.num_agpr, 0
	.set batched_transpose_64x4_byte.numbered_sgpr, 24
	.set batched_transpose_64x4_byte.num_named_barrier, 0
	.set batched_transpose_64x4_byte.private_seg_size, 0
	.set batched_transpose_64x4_byte.uses_vcc, 1
	.set batched_transpose_64x4_byte.uses_flat_scratch, 0
	.set batched_transpose_64x4_byte.has_dyn_sized_stack, 0
	.set batched_transpose_64x4_byte.has_recursion, 0
	.set batched_transpose_64x4_byte.has_indirect_call, 0
	.section	.AMDGPU.csdata,"",@progbits
; Kernel info:
; codeLenInByte = 324
; TotalNumSgprs: 28
; NumVgprs: 10
; ScratchSize: 0
; MemoryBound: 0
; FloatMode: 240
; IeeeMode: 1
; LDSByteSize: 0 bytes/workgroup (compile time only)
; SGPRBlocks: 3
; VGPRBlocks: 2
; NumSGPRsForWavesPerEU: 28
; NumVGPRsForWavesPerEU: 10
; Occupancy: 10
; WaveLimiterHint : 0
; COMPUTE_PGM_RSRC2:SCRATCH_EN: 0
; COMPUTE_PGM_RSRC2:USER_SGPR: 6
; COMPUTE_PGM_RSRC2:TRAP_HANDLER: 0
; COMPUTE_PGM_RSRC2:TGID_X_EN: 1
; COMPUTE_PGM_RSRC2:TGID_Y_EN: 0
; COMPUTE_PGM_RSRC2:TGID_Z_EN: 0
; COMPUTE_PGM_RSRC2:TIDIG_COMP_CNT: 0
	.text
	.protected	batched_transpose_32x32_pack_2x2_ediv_2x2_half ; -- Begin function batched_transpose_32x32_pack_2x2_ediv_2x2_half
	.globl	batched_transpose_32x32_pack_2x2_ediv_2x2_half
	.p2align	8
	.type	batched_transpose_32x32_pack_2x2_ediv_2x2_half,@function
batched_transpose_32x32_pack_2x2_ediv_2x2_half: ; @batched_transpose_32x32_pack_2x2_ediv_2x2_half
; %bb.0:
	s_load_dwordx8 s[8:15], s[4:5], 0x10
	s_waitcnt lgkmcnt(0)
	s_cmp_ge_u32 s6, s11
	s_cbranch_scc1 .LBB30_7
; %bb.1:
	v_and_b32_e32 v4, 15, v0
	v_lshrrev_b32_e32 v0, 4, v0
	s_load_dwordx4 s[16:19], s[4:5], 0x0
	s_add_i32 s0, s8, 31
	v_lshlrev_b32_e32 v1, 2, v0
	s_movk_i32 s1, 0x44
	s_lshr_b32 s7, s0, 5
	s_add_i32 s0, s9, 31
	v_mad_u32_u24 v6, v4, s1, v1
	v_lshlrev_b32_e32 v1, 2, v4
	s_mov_b32 s5, 0
	v_mad_u32_u24 v7, v0, s1, v1
	s_and_b32 s1, s0, 0xffffffe0
	s_lshr_b32 s0, s0, 1
	s_lshr_b32 s2, s8, 1
	s_lshr_b32 s4, s9, 1
	v_lshlrev_b32_e32 v5, 1, v0
	s_mov_b32 s3, s5
	s_and_b32 s0, s0, 0x7ffffff0
	s_mov_b32 s24, s9
	s_sub_i32 s25, 0, s1
	v_lshl_or_b32 v8, s6, 5, v5
	s_lshl_b32 s26, s10, 5
	s_sub_i32 s27, 0, s0
	v_lshl_or_b32 v9, s6, 4, v4
	s_lshl_b32 s28, s10, 4
	v_mov_b32_e32 v1, 0
	s_lshl_b64 s[20:21], s[4:5], 2
	s_mov_b32 s5, 0xffff0000
	s_lshl_b64 s[22:23], s[2:3], 2
	s_branch .LBB30_3
.LBB30_2:                               ;   in Loop: Header=BB30_3 Depth=1
	s_or_b64 exec, exec, s[0:1]
	s_add_i32 s6, s6, s10
	v_add_u32_e32 v8, s26, v8
	s_cmp_lt_u32 s6, s11
	v_add_u32_e32 v9, s28, v9
	s_cbranch_scc0 .LBB30_7
.LBB30_3:                               ; =>This Inner Loop Header: Depth=1
	s_mul_hi_u32 s0, s14, s6
	s_add_i32 s0, s6, s0
	s_lshr_b32 s29, s0, s15
	s_mul_hi_u32 s0, s29, s12
	s_add_i32 s0, s29, s0
	s_lshr_b32 s3, s0, s13
	s_mul_i32 s0, s3, s7
	s_sub_i32 s30, s29, s0
	s_mul_i32 s0, s27, s29
	v_add_u32_e32 v2, s0, v9
	v_lshl_or_b32 v0, s30, 5, v5
	v_cmp_gt_u32_e32 vcc, s8, v0
	v_cmp_gt_u32_e64 s[0:1], s4, v2
	s_and_b64 s[34:35], vcc, s[0:1]
	s_waitcnt vmcnt(0) lgkmcnt(0)
	s_barrier
	s_and_saveexec_b64 s[0:1], s[34:35]
	s_cbranch_execz .LBB30_5
; %bb.4:                                ;   in Loop: Header=BB30_3 Depth=1
	v_mov_b32_e32 v3, s8
	v_mad_u64_u32 v[10:11], s[34:35], s3, v3, v[0:1]
	v_mov_b32_e32 v3, v1
	v_lshlrev_b64 v[2:3], 2, v[2:3]
	v_mad_u64_u32 v[12:13], s[34:35], v10, s4, 0
	v_mov_b32_e32 v0, v13
	v_mad_u64_u32 v[10:11], s[34:35], v11, s4, v[0:1]
	v_mov_b32_e32 v0, s19
	v_mov_b32_e32 v13, v10
	v_lshlrev_b64 v[10:11], 2, v[12:13]
	v_add_co_u32_e32 v10, vcc, s18, v10
	v_addc_co_u32_e32 v0, vcc, v0, v11, vcc
	v_add_co_u32_e32 v2, vcc, v10, v2
	v_addc_co_u32_e32 v3, vcc, v0, v3, vcc
	global_load_dword v0, v[2:3], off
	v_mov_b32_e32 v10, s21
	v_add_co_u32_e32 v2, vcc, s20, v2
	v_addc_co_u32_e32 v3, vcc, v3, v10, vcc
	global_load_dword v2, v[2:3], off
	s_waitcnt vmcnt(1)
	v_and_b32_e32 v3, 0xffff, v0
	v_lshrrev_b32_e32 v0, 16, v0
	s_waitcnt vmcnt(0)
	v_lshl_or_b32 v3, v2, 16, v3
	v_and_or_b32 v0, v2, s5, v0
	ds_write_b32 v6, v3
	ds_write_b32 v6, v0 offset:1088
.LBB30_5:                               ;   in Loop: Header=BB30_3 Depth=1
	s_or_b64 exec, exec, s[0:1]
	s_mul_i32 s0, s25, s29
	v_lshl_or_b32 v2, s30, 4, v4
	v_add_u32_e32 v0, s0, v8
	v_cmp_gt_u32_e32 vcc, s2, v2
	v_cmp_gt_u32_e64 s[0:1], s9, v0
	s_and_b64 s[30:31], s[0:1], vcc
	s_waitcnt lgkmcnt(0)
	s_barrier
	s_and_saveexec_b64 s[0:1], s[30:31]
	s_cbranch_execz .LBB30_2
; %bb.6:                                ;   in Loop: Header=BB30_3 Depth=1
	v_mov_b32_e32 v3, s24
	v_mad_u64_u32 v[10:11], s[30:31], s3, v3, v[0:1]
	v_mov_b32_e32 v3, v1
	v_mov_b32_e32 v15, s17
	v_mad_u64_u32 v[12:13], s[30:31], v10, s2, 0
	v_lshlrev_b64 v[2:3], 2, v[2:3]
	v_mov_b32_e32 v0, v13
	v_mad_u64_u32 v[10:11], s[30:31], v11, s2, v[0:1]
	ds_read_b32 v0, v7
	ds_read_b32 v14, v7 offset:1088
	v_mov_b32_e32 v13, v10
	v_lshlrev_b64 v[10:11], 2, v[12:13]
	v_add_co_u32_e32 v10, vcc, s16, v10
	v_addc_co_u32_e32 v11, vcc, v15, v11, vcc
	v_add_co_u32_e32 v2, vcc, v10, v2
	v_addc_co_u32_e32 v3, vcc, v11, v3, vcc
	s_waitcnt lgkmcnt(1)
	global_store_dword v[2:3], v0, off
	v_mov_b32_e32 v0, s23
	v_add_co_u32_e32 v2, vcc, s22, v2
	v_addc_co_u32_e32 v3, vcc, v3, v0, vcc
	s_waitcnt lgkmcnt(0)
	global_store_dword v[2:3], v14, off
	s_branch .LBB30_2
.LBB30_7:
	s_endpgm
	.section	.rodata,"a",@progbits
	.p2align	6, 0x0
	.amdhsa_kernel batched_transpose_32x32_pack_2x2_ediv_2x2_half
		.amdhsa_group_segment_fixed_size 2176
		.amdhsa_private_segment_fixed_size 0
		.amdhsa_kernarg_size 48
		.amdhsa_user_sgpr_count 6
		.amdhsa_user_sgpr_private_segment_buffer 1
		.amdhsa_user_sgpr_dispatch_ptr 0
		.amdhsa_user_sgpr_queue_ptr 0
		.amdhsa_user_sgpr_kernarg_segment_ptr 1
		.amdhsa_user_sgpr_dispatch_id 0
		.amdhsa_user_sgpr_flat_scratch_init 0
		.amdhsa_user_sgpr_private_segment_size 0
		.amdhsa_uses_dynamic_stack 0
		.amdhsa_system_sgpr_private_segment_wavefront_offset 0
		.amdhsa_system_sgpr_workgroup_id_x 1
		.amdhsa_system_sgpr_workgroup_id_y 0
		.amdhsa_system_sgpr_workgroup_id_z 0
		.amdhsa_system_sgpr_workgroup_info 0
		.amdhsa_system_vgpr_workitem_id 0
		.amdhsa_next_free_vgpr 16
		.amdhsa_next_free_sgpr 36
		.amdhsa_reserve_vcc 1
		.amdhsa_reserve_flat_scratch 0
		.amdhsa_float_round_mode_32 0
		.amdhsa_float_round_mode_16_64 0
		.amdhsa_float_denorm_mode_32 3
		.amdhsa_float_denorm_mode_16_64 3
		.amdhsa_dx10_clamp 1
		.amdhsa_ieee_mode 1
		.amdhsa_fp16_overflow 0
		.amdhsa_exception_fp_ieee_invalid_op 0
		.amdhsa_exception_fp_denorm_src 0
		.amdhsa_exception_fp_ieee_div_zero 0
		.amdhsa_exception_fp_ieee_overflow 0
		.amdhsa_exception_fp_ieee_underflow 0
		.amdhsa_exception_fp_ieee_inexact 0
		.amdhsa_exception_int_div_zero 0
	.end_amdhsa_kernel
	.text
.Lfunc_end30:
	.size	batched_transpose_32x32_pack_2x2_ediv_2x2_half, .Lfunc_end30-batched_transpose_32x32_pack_2x2_ediv_2x2_half
                                        ; -- End function
	.set batched_transpose_32x32_pack_2x2_ediv_2x2_half.num_vgpr, 16
	.set batched_transpose_32x32_pack_2x2_ediv_2x2_half.num_agpr, 0
	.set batched_transpose_32x32_pack_2x2_ediv_2x2_half.numbered_sgpr, 36
	.set batched_transpose_32x32_pack_2x2_ediv_2x2_half.num_named_barrier, 0
	.set batched_transpose_32x32_pack_2x2_ediv_2x2_half.private_seg_size, 0
	.set batched_transpose_32x32_pack_2x2_ediv_2x2_half.uses_vcc, 1
	.set batched_transpose_32x32_pack_2x2_ediv_2x2_half.uses_flat_scratch, 0
	.set batched_transpose_32x32_pack_2x2_ediv_2x2_half.has_dyn_sized_stack, 0
	.set batched_transpose_32x32_pack_2x2_ediv_2x2_half.has_recursion, 0
	.set batched_transpose_32x32_pack_2x2_ediv_2x2_half.has_indirect_call, 0
	.section	.AMDGPU.csdata,"",@progbits
; Kernel info:
; codeLenInByte = 624
; TotalNumSgprs: 40
; NumVgprs: 16
; ScratchSize: 0
; MemoryBound: 0
; FloatMode: 240
; IeeeMode: 1
; LDSByteSize: 2176 bytes/workgroup (compile time only)
; SGPRBlocks: 4
; VGPRBlocks: 3
; NumSGPRsForWavesPerEU: 40
; NumVGPRsForWavesPerEU: 16
; Occupancy: 10
; WaveLimiterHint : 0
; COMPUTE_PGM_RSRC2:SCRATCH_EN: 0
; COMPUTE_PGM_RSRC2:USER_SGPR: 6
; COMPUTE_PGM_RSRC2:TRAP_HANDLER: 0
; COMPUTE_PGM_RSRC2:TGID_X_EN: 1
; COMPUTE_PGM_RSRC2:TGID_Y_EN: 0
; COMPUTE_PGM_RSRC2:TGID_Z_EN: 0
; COMPUTE_PGM_RSRC2:TIDIG_COMP_CNT: 0
	.text
	.protected	batched_transpose_32x32_pack_2x2_ediv_1x2_half ; -- Begin function batched_transpose_32x32_pack_2x2_ediv_1x2_half
	.globl	batched_transpose_32x32_pack_2x2_ediv_1x2_half
	.p2align	8
	.type	batched_transpose_32x32_pack_2x2_ediv_1x2_half,@function
batched_transpose_32x32_pack_2x2_ediv_1x2_half: ; @batched_transpose_32x32_pack_2x2_ediv_1x2_half
; %bb.0:
	s_load_dwordx8 s[8:15], s[4:5], 0x10
	s_waitcnt lgkmcnt(0)
	s_cmp_ge_u32 s6, s11
	s_cbranch_scc1 .LBB31_11
; %bb.1:
	s_load_dwordx4 s[16:19], s[4:5], 0x0
	s_add_i32 s0, s8, 31
	v_lshrrev_b32_e32 v8, 4, v0
	s_lshr_b32 s22, s0, 5
	v_and_b32_e32 v7, 15, v0
	v_lshlrev_b32_e32 v0, 2, v8
	s_movk_i32 s0, 0x44
	s_lshr_b32 s7, s8, 1
	s_mov_b32 s3, 0
	v_mad_u32_u24 v10, v7, s0, v0
	v_lshlrev_b32_e32 v0, 2, v7
	v_mad_u32_u24 v11, v8, s0, v0
	s_lshl_b32 s0, s7, 4
	s_mov_b32 s1, s3
	s_add_i32 s4, s9, 31
	s_lshl_b64 s[0:1], s[0:1], 2
	s_waitcnt lgkmcnt(0)
	s_add_u32 s23, s16, s0
	v_mov_b32_e32 v1, 0
	s_mov_b32 s2, s9
	s_addc_u32 s24, s17, s1
	s_andn2_b32 s4, s4, 31
	v_mov_b32_e32 v0, v1
	v_mov_b32_e32 v3, v1
	v_lshlrev_b32_e32 v9, 1, v8
	s_sub_i32 s25, 0, s4
	s_lshl_b32 s26, s6, 5
	s_lshl_b32 s27, s10, 5
	v_mov_b32_e32 v12, s8
	s_lshl_b64 s[4:5], s[2:3], 1
	s_mov_b32 s3, 0xffff
	s_mov_b32 s28, 0x5040100
	;; [unrolled: 1-line block ×4, first 2 shown]
	v_mov_b32_e32 v2, v0
	s_branch .LBB31_3
.LBB31_2:                               ;   in Loop: Header=BB31_3 Depth=1
	s_or_b64 exec, exec, s[0:1]
	s_add_i32 s6, s6, s10
	s_add_i32 s26, s26, s27
	s_cmp_lt_u32 s6, s11
	s_cbranch_scc0 .LBB31_11
.LBB31_3:                               ; =>This Inner Loop Header: Depth=1
	s_mul_hi_u32 s0, s14, s6
	s_add_i32 s0, s6, s0
	s_lshr_b32 s0, s0, s15
	s_mul_hi_u32 s1, s0, s12
	s_add_i32 s1, s0, s1
	s_lshr_b32 s31, s1, s13
	s_mul_i32 s1, s31, s22
	s_sub_i32 s33, s0, s1
	v_lshl_or_b32 v0, s33, 5, v9
	s_mul_i32 s34, s25, s0
	v_mad_u64_u32 v[13:14], s[0:1], s31, v12, v[0:1]
	s_add_i32 s34, s34, s26
	v_add_u32_e32 v4, s34, v7
	v_mov_b32_e32 v5, v1
	s_waitcnt lgkmcnt(0)
	v_mad_u64_u32 v[5:6], s[0:1], v13, s2, v[4:5]
	v_cmp_gt_u32_e32 vcc, s8, v0
	v_mad_u64_u32 v[13:14], s[0:1], v14, s2, v[6:7]
	v_cmp_gt_u32_e64 s[0:1], s9, v4
	s_and_b64 s[0:1], vcc, s[0:1]
	v_mov_b32_e32 v6, v13
	v_lshlrev_b64 v[5:6], 1, v[5:6]
	s_waitcnt vmcnt(0)
	s_barrier
	s_and_saveexec_b64 s[20:21], s[0:1]
	s_cbranch_execz .LBB31_5
; %bb.4:                                ;   in Loop: Header=BB31_3 Depth=1
	v_mov_b32_e32 v0, s19
	v_add_co_u32_e64 v13, s[0:1], s18, v5
	v_addc_co_u32_e64 v14, s[0:1], v0, v6, s[0:1]
	v_mov_b32_e32 v0, s5
	v_add_co_u32_e64 v15, s[0:1], s4, v13
	v_addc_co_u32_e64 v16, s[0:1], v14, v0, s[0:1]
	global_load_ushort v0, v[13:14], off
	global_load_ushort v17, v[15:16], off
	s_waitcnt vmcnt(1)
	v_bfi_b32 v2, s3, v0, v2
	s_waitcnt vmcnt(0)
	v_bfi_b32 v3, s3, v17, v3
.LBB31_5:                               ;   in Loop: Header=BB31_3 Depth=1
	s_or_b64 exec, exec, s[20:21]
	v_add_u32_e32 v0, 16, v4
	v_cmp_gt_u32_e64 s[0:1], s9, v0
	s_and_b64 s[20:21], vcc, s[0:1]
	s_and_saveexec_b64 s[0:1], s[20:21]
	s_cbranch_execz .LBB31_7
; %bb.6:                                ;   in Loop: Header=BB31_3 Depth=1
	v_mov_b32_e32 v0, s19
	v_add_co_u32_e32 v4, vcc, s18, v5
	v_addc_co_u32_e32 v5, vcc, v0, v6, vcc
	v_mov_b32_e32 v0, s5
	v_add_co_u32_e32 v13, vcc, s4, v4
	v_addc_co_u32_e32 v14, vcc, v5, v0, vcc
	global_load_ushort v0, v[4:5], off offset:32
	global_load_ushort v6, v[13:14], off offset:32
	s_waitcnt vmcnt(1)
	v_perm_b32 v2, v0, v2, s28
	s_waitcnt vmcnt(0)
	v_perm_b32 v3, v6, v3, s28
.LBB31_7:                               ;   in Loop: Header=BB31_3 Depth=1
	s_or_b64 exec, exec, s[0:1]
	v_add_u32_e32 v0, s34, v8
	v_mov_b32_e32 v4, s2
	v_mad_u64_u32 v[4:5], s[0:1], s31, v4, v[0:1]
	v_lshl_or_b32 v13, s33, 4, v7
	v_mov_b32_e32 v14, v1
	v_mad_u64_u32 v[14:15], s[0:1], v4, s7, v[13:14]
	v_perm_b32 v6, v2, v3, s29
	v_perm_b32 v4, v2, v3, s30
	ds_write_b32 v10, v6
	ds_write_b32 v10, v4 offset:1088
	v_mov_b32_e32 v4, v15
	v_mad_u64_u32 v[4:5], s[0:1], v5, s7, v[4:5]
	s_waitcnt lgkmcnt(0)
	s_barrier
	ds_read_b32 v6, v11 offset:1088
	v_mov_b32_e32 v15, v4
	v_cmp_gt_u32_e32 vcc, s7, v13
	v_cmp_gt_u32_e64 s[0:1], s9, v0
	v_lshlrev_b64 v[4:5], 2, v[14:15]
	s_and_b64 s[0:1], s[0:1], vcc
	s_and_saveexec_b64 s[20:21], s[0:1]
	s_cbranch_execz .LBB31_9
; %bb.8:                                ;   in Loop: Header=BB31_3 Depth=1
	ds_read_b32 v15, v11
	v_mov_b32_e32 v14, s17
	v_add_co_u32_e64 v13, s[0:1], s16, v4
	v_addc_co_u32_e64 v14, s[0:1], v14, v5, s[0:1]
	s_waitcnt lgkmcnt(0)
	global_store_dword v[13:14], v15, off
.LBB31_9:                               ;   in Loop: Header=BB31_3 Depth=1
	s_or_b64 exec, exec, s[20:21]
	v_add_u32_e32 v0, 16, v0
	v_cmp_gt_u32_e64 s[0:1], s9, v0
	s_and_b64 s[20:21], s[0:1], vcc
	s_and_saveexec_b64 s[0:1], s[20:21]
	s_cbranch_execz .LBB31_2
; %bb.10:                               ;   in Loop: Header=BB31_3 Depth=1
	v_mov_b32_e32 v0, s24
	v_add_co_u32_e32 v4, vcc, s23, v4
	v_addc_co_u32_e32 v5, vcc, v0, v5, vcc
	s_waitcnt lgkmcnt(0)
	global_store_dword v[4:5], v6, off
	s_branch .LBB31_2
.LBB31_11:
	s_endpgm
	.section	.rodata,"a",@progbits
	.p2align	6, 0x0
	.amdhsa_kernel batched_transpose_32x32_pack_2x2_ediv_1x2_half
		.amdhsa_group_segment_fixed_size 2176
		.amdhsa_private_segment_fixed_size 0
		.amdhsa_kernarg_size 48
		.amdhsa_user_sgpr_count 6
		.amdhsa_user_sgpr_private_segment_buffer 1
		.amdhsa_user_sgpr_dispatch_ptr 0
		.amdhsa_user_sgpr_queue_ptr 0
		.amdhsa_user_sgpr_kernarg_segment_ptr 1
		.amdhsa_user_sgpr_dispatch_id 0
		.amdhsa_user_sgpr_flat_scratch_init 0
		.amdhsa_user_sgpr_private_segment_size 0
		.amdhsa_uses_dynamic_stack 0
		.amdhsa_system_sgpr_private_segment_wavefront_offset 0
		.amdhsa_system_sgpr_workgroup_id_x 1
		.amdhsa_system_sgpr_workgroup_id_y 0
		.amdhsa_system_sgpr_workgroup_id_z 0
		.amdhsa_system_sgpr_workgroup_info 0
		.amdhsa_system_vgpr_workitem_id 0
		.amdhsa_next_free_vgpr 18
		.amdhsa_next_free_sgpr 35
		.amdhsa_reserve_vcc 1
		.amdhsa_reserve_flat_scratch 0
		.amdhsa_float_round_mode_32 0
		.amdhsa_float_round_mode_16_64 0
		.amdhsa_float_denorm_mode_32 3
		.amdhsa_float_denorm_mode_16_64 3
		.amdhsa_dx10_clamp 1
		.amdhsa_ieee_mode 1
		.amdhsa_fp16_overflow 0
		.amdhsa_exception_fp_ieee_invalid_op 0
		.amdhsa_exception_fp_denorm_src 0
		.amdhsa_exception_fp_ieee_div_zero 0
		.amdhsa_exception_fp_ieee_overflow 0
		.amdhsa_exception_fp_ieee_underflow 0
		.amdhsa_exception_fp_ieee_inexact 0
		.amdhsa_exception_int_div_zero 0
	.end_amdhsa_kernel
	.text
.Lfunc_end31:
	.size	batched_transpose_32x32_pack_2x2_ediv_1x2_half, .Lfunc_end31-batched_transpose_32x32_pack_2x2_ediv_1x2_half
                                        ; -- End function
	.set batched_transpose_32x32_pack_2x2_ediv_1x2_half.num_vgpr, 18
	.set batched_transpose_32x32_pack_2x2_ediv_1x2_half.num_agpr, 0
	.set batched_transpose_32x32_pack_2x2_ediv_1x2_half.numbered_sgpr, 35
	.set batched_transpose_32x32_pack_2x2_ediv_1x2_half.num_named_barrier, 0
	.set batched_transpose_32x32_pack_2x2_ediv_1x2_half.private_seg_size, 0
	.set batched_transpose_32x32_pack_2x2_ediv_1x2_half.uses_vcc, 1
	.set batched_transpose_32x32_pack_2x2_ediv_1x2_half.uses_flat_scratch, 0
	.set batched_transpose_32x32_pack_2x2_ediv_1x2_half.has_dyn_sized_stack, 0
	.set batched_transpose_32x32_pack_2x2_ediv_1x2_half.has_recursion, 0
	.set batched_transpose_32x32_pack_2x2_ediv_1x2_half.has_indirect_call, 0
	.section	.AMDGPU.csdata,"",@progbits
; Kernel info:
; codeLenInByte = 748
; TotalNumSgprs: 39
; NumVgprs: 18
; ScratchSize: 0
; MemoryBound: 0
; FloatMode: 240
; IeeeMode: 1
; LDSByteSize: 2176 bytes/workgroup (compile time only)
; SGPRBlocks: 4
; VGPRBlocks: 4
; NumSGPRsForWavesPerEU: 39
; NumVGPRsForWavesPerEU: 18
; Occupancy: 10
; WaveLimiterHint : 0
; COMPUTE_PGM_RSRC2:SCRATCH_EN: 0
; COMPUTE_PGM_RSRC2:USER_SGPR: 6
; COMPUTE_PGM_RSRC2:TRAP_HANDLER: 0
; COMPUTE_PGM_RSRC2:TGID_X_EN: 1
; COMPUTE_PGM_RSRC2:TGID_Y_EN: 0
; COMPUTE_PGM_RSRC2:TGID_Z_EN: 0
; COMPUTE_PGM_RSRC2:TIDIG_COMP_CNT: 0
	.text
	.protected	batched_transpose_32x32_pack_2x2_ediv_2x1_half ; -- Begin function batched_transpose_32x32_pack_2x2_ediv_2x1_half
	.globl	batched_transpose_32x32_pack_2x2_ediv_2x1_half
	.p2align	8
	.type	batched_transpose_32x32_pack_2x2_ediv_2x1_half,@function
batched_transpose_32x32_pack_2x2_ediv_2x1_half: ; @batched_transpose_32x32_pack_2x2_ediv_2x1_half
; %bb.0:
	s_load_dwordx8 s[8:15], s[4:5], 0x10
	s_waitcnt lgkmcnt(0)
	s_cmp_ge_u32 s6, s11
	s_cbranch_scc1 .LBB32_11
; %bb.1:
	s_load_dwordx4 s[16:19], s[4:5], 0x0
	s_lshr_b32 s7, s9, 1
	s_add_i32 s0, s8, 31
	s_mov_b32 s3, 0
	s_lshr_b32 s22, s0, 5
	s_lshl_b32 s0, s7, 4
	s_mov_b32 s1, s3
	s_add_i32 s4, s9, 31
	v_and_b32_e32 v7, 15, v0
	v_lshrrev_b32_e32 v8, 4, v0
	s_lshl_b64 s[0:1], s[0:1], 2
	s_waitcnt lgkmcnt(0)
	s_add_u32 s23, s18, s0
	v_lshlrev_b32_e32 v0, 2, v8
	s_movk_i32 s0, 0x44
	v_lshlrev_b32_e32 v1, 2, v7
	s_addc_u32 s24, s19, s1
	v_mad_u32_u24 v9, v7, s0, v0
	v_mad_u32_u24 v10, v8, s0, v1
	s_and_b32 s0, s4, 0xffffffe0
	v_lshlrev_b32_e32 v0, 1, v8
	s_sub_i32 s26, 0, s0
	s_lshr_b32 s0, s4, 1
	v_mov_b32_e32 v1, 0
	s_mov_b32 s2, s8
	v_lshl_or_b32 v11, s6, 5, v0
	s_and_b32 s0, s0, 0x7ffffff0
	v_mov_b32_e32 v0, v1
	v_mov_b32_e32 v3, v1
	s_mov_b32 s25, s9
	s_lshl_b32 s27, s10, 5
	s_sub_i32 s28, 0, s0
	v_lshl_or_b32 v12, s6, 4, v7
	s_lshl_b32 s29, s10, 4
	v_mov_b32_e32 v13, s8
	s_mov_b32 s30, 0xffff0000
	s_lshl_b64 s[4:5], s[2:3], 1
	v_mov_b32_e32 v2, v0
	s_branch .LBB32_3
.LBB32_2:                               ;   in Loop: Header=BB32_3 Depth=1
	s_or_b64 exec, exec, s[0:1]
	s_add_i32 s6, s6, s10
	v_add_u32_e32 v11, s27, v11
	s_cmp_lt_u32 s6, s11
	v_add_u32_e32 v12, s29, v12
	s_cbranch_scc0 .LBB32_11
.LBB32_3:                               ; =>This Inner Loop Header: Depth=1
	s_mul_hi_u32 s0, s14, s6
	s_add_i32 s0, s6, s0
	s_lshr_b32 s31, s0, s15
	s_mul_hi_u32 s0, s31, s12
	s_add_i32 s0, s31, s0
	s_lshr_b32 s3, s0, s13
	s_mul_i32 s0, s3, s22
	s_sub_i32 s0, s31, s0
	s_lshl_b32 s33, s0, 5
	v_or_b32_e32 v0, s33, v8
	v_mad_u64_u32 v[4:5], s[0:1], s3, v13, v[0:1]
	s_mul_i32 s20, s28, s31
	s_waitcnt lgkmcnt(1)
	v_add_u32_e32 v14, s20, v12
	s_waitcnt lgkmcnt(0)
	v_mov_b32_e32 v15, v1
	v_mad_u64_u32 v[15:16], s[0:1], v4, s7, v[14:15]
	v_cmp_gt_u32_e32 vcc, s7, v14
	v_mov_b32_e32 v4, v16
	v_mad_u64_u32 v[4:5], s[0:1], v5, s7, v[4:5]
	v_cmp_gt_u32_e64 s[0:1], s8, v0
	s_and_b64 s[0:1], s[0:1], vcc
	v_mov_b32_e32 v16, v4
	v_lshlrev_b64 v[4:5], 2, v[15:16]
	s_waitcnt vmcnt(0)
	s_barrier
	s_and_saveexec_b64 s[20:21], s[0:1]
	s_cbranch_execz .LBB32_5
; %bb.4:                                ;   in Loop: Header=BB32_3 Depth=1
	v_mov_b32_e32 v2, s19
	v_add_co_u32_e64 v14, s[0:1], s18, v4
	v_addc_co_u32_e64 v15, s[0:1], v2, v5, s[0:1]
	global_load_dword v2, v[14:15], off
.LBB32_5:                               ;   in Loop: Header=BB32_3 Depth=1
	s_or_b64 exec, exec, s[20:21]
	v_add_u32_e32 v0, 16, v0
	v_cmp_gt_u32_e64 s[0:1], s8, v0
	s_and_b64 s[20:21], s[0:1], vcc
	s_and_saveexec_b64 s[0:1], s[20:21]
	s_cbranch_execz .LBB32_7
; %bb.6:                                ;   in Loop: Header=BB32_3 Depth=1
	v_mov_b32_e32 v0, s24
	v_add_co_u32_e32 v3, vcc, s23, v4
	v_addc_co_u32_e32 v4, vcc, v0, v5, vcc
	global_load_dword v3, v[3:4], off
.LBB32_7:                               ;   in Loop: Header=BB32_3 Depth=1
	s_or_b64 exec, exec, s[0:1]
	s_waitcnt vmcnt(0)
	v_and_b32_e32 v0, 0xffff, v2
	s_mul_i32 s0, s26, s31
	v_lshl_or_b32 v16, v3, 16, v0
	v_add_u32_e32 v0, s0, v11
	v_mov_b32_e32 v4, s25
	v_mad_u64_u32 v[14:15], s[0:1], s3, v4, v[0:1]
	v_or_b32_e32 v4, s33, v7
	v_mov_b32_e32 v5, v1
	v_mad_u64_u32 v[5:6], s[0:1], v14, s2, v[4:5]
	v_lshrrev_b32_e32 v17, 16, v2
	v_and_or_b32 v14, v3, s30, v17
	ds_write_b32 v9, v16
	ds_write_b32 v9, v14 offset:1088
	v_mad_u64_u32 v[14:15], s[0:1], v15, s2, v[6:7]
	s_waitcnt lgkmcnt(0)
	s_barrier
	v_mov_b32_e32 v6, v14
	ds_read_b32 v14, v10
	ds_read_b32 v15, v10 offset:1088
	v_cmp_gt_u32_e64 s[0:1], s8, v4
	v_cmp_gt_u32_e32 vcc, s9, v0
	v_lshlrev_b64 v[5:6], 1, v[5:6]
	s_and_b64 s[0:1], s[0:1], vcc
	s_and_saveexec_b64 s[20:21], s[0:1]
	s_cbranch_execz .LBB32_9
; %bb.8:                                ;   in Loop: Header=BB32_3 Depth=1
	v_mov_b32_e32 v0, s17
	v_add_co_u32_e64 v16, s[0:1], s16, v5
	v_addc_co_u32_e64 v17, s[0:1], v0, v6, s[0:1]
	v_mov_b32_e32 v0, s5
	v_add_co_u32_e64 v18, s[0:1], s4, v16
	v_addc_co_u32_e64 v19, s[0:1], v17, v0, s[0:1]
	s_waitcnt lgkmcnt(1)
	global_store_short v[16:17], v14, off
	s_waitcnt lgkmcnt(0)
	global_store_short v[18:19], v15, off
.LBB32_9:                               ;   in Loop: Header=BB32_3 Depth=1
	s_or_b64 exec, exec, s[20:21]
	v_or_b32_e32 v0, 16, v4
	v_cmp_gt_u32_e64 s[0:1], s8, v0
	s_and_b64 s[20:21], s[0:1], vcc
	s_and_saveexec_b64 s[0:1], s[20:21]
	s_cbranch_execz .LBB32_2
; %bb.10:                               ;   in Loop: Header=BB32_3 Depth=1
	v_mov_b32_e32 v0, s17
	v_add_co_u32_e32 v4, vcc, s16, v5
	v_addc_co_u32_e32 v5, vcc, v0, v6, vcc
	v_mov_b32_e32 v0, s5
	v_add_co_u32_e32 v16, vcc, s4, v4
	v_addc_co_u32_e32 v17, vcc, v5, v0, vcc
	s_waitcnt lgkmcnt(1)
	global_store_short_d16_hi v[4:5], v14, off offset:32
	s_waitcnt lgkmcnt(0)
	global_store_short_d16_hi v[16:17], v15, off offset:32
	s_branch .LBB32_2
.LBB32_11:
	s_endpgm
	.section	.rodata,"a",@progbits
	.p2align	6, 0x0
	.amdhsa_kernel batched_transpose_32x32_pack_2x2_ediv_2x1_half
		.amdhsa_group_segment_fixed_size 2176
		.amdhsa_private_segment_fixed_size 0
		.amdhsa_kernarg_size 48
		.amdhsa_user_sgpr_count 6
		.amdhsa_user_sgpr_private_segment_buffer 1
		.amdhsa_user_sgpr_dispatch_ptr 0
		.amdhsa_user_sgpr_queue_ptr 0
		.amdhsa_user_sgpr_kernarg_segment_ptr 1
		.amdhsa_user_sgpr_dispatch_id 0
		.amdhsa_user_sgpr_flat_scratch_init 0
		.amdhsa_user_sgpr_private_segment_size 0
		.amdhsa_uses_dynamic_stack 0
		.amdhsa_system_sgpr_private_segment_wavefront_offset 0
		.amdhsa_system_sgpr_workgroup_id_x 1
		.amdhsa_system_sgpr_workgroup_id_y 0
		.amdhsa_system_sgpr_workgroup_id_z 0
		.amdhsa_system_sgpr_workgroup_info 0
		.amdhsa_system_vgpr_workitem_id 0
		.amdhsa_next_free_vgpr 20
		.amdhsa_next_free_sgpr 34
		.amdhsa_reserve_vcc 1
		.amdhsa_reserve_flat_scratch 0
		.amdhsa_float_round_mode_32 0
		.amdhsa_float_round_mode_16_64 0
		.amdhsa_float_denorm_mode_32 3
		.amdhsa_float_denorm_mode_16_64 3
		.amdhsa_dx10_clamp 1
		.amdhsa_ieee_mode 1
		.amdhsa_fp16_overflow 0
		.amdhsa_exception_fp_ieee_invalid_op 0
		.amdhsa_exception_fp_denorm_src 0
		.amdhsa_exception_fp_ieee_div_zero 0
		.amdhsa_exception_fp_ieee_overflow 0
		.amdhsa_exception_fp_ieee_underflow 0
		.amdhsa_exception_fp_ieee_inexact 0
		.amdhsa_exception_int_div_zero 0
	.end_amdhsa_kernel
	.text
.Lfunc_end32:
	.size	batched_transpose_32x32_pack_2x2_ediv_2x1_half, .Lfunc_end32-batched_transpose_32x32_pack_2x2_ediv_2x1_half
                                        ; -- End function
	.set batched_transpose_32x32_pack_2x2_ediv_2x1_half.num_vgpr, 20
	.set batched_transpose_32x32_pack_2x2_ediv_2x1_half.num_agpr, 0
	.set batched_transpose_32x32_pack_2x2_ediv_2x1_half.numbered_sgpr, 34
	.set batched_transpose_32x32_pack_2x2_ediv_2x1_half.num_named_barrier, 0
	.set batched_transpose_32x32_pack_2x2_ediv_2x1_half.private_seg_size, 0
	.set batched_transpose_32x32_pack_2x2_ediv_2x1_half.uses_vcc, 1
	.set batched_transpose_32x32_pack_2x2_ediv_2x1_half.uses_flat_scratch, 0
	.set batched_transpose_32x32_pack_2x2_ediv_2x1_half.has_dyn_sized_stack, 0
	.set batched_transpose_32x32_pack_2x2_ediv_2x1_half.has_recursion, 0
	.set batched_transpose_32x32_pack_2x2_ediv_2x1_half.has_indirect_call, 0
	.section	.AMDGPU.csdata,"",@progbits
; Kernel info:
; codeLenInByte = 744
; TotalNumSgprs: 38
; NumVgprs: 20
; ScratchSize: 0
; MemoryBound: 0
; FloatMode: 240
; IeeeMode: 1
; LDSByteSize: 2176 bytes/workgroup (compile time only)
; SGPRBlocks: 4
; VGPRBlocks: 4
; NumSGPRsForWavesPerEU: 38
; NumVGPRsForWavesPerEU: 20
; Occupancy: 10
; WaveLimiterHint : 0
; COMPUTE_PGM_RSRC2:SCRATCH_EN: 0
; COMPUTE_PGM_RSRC2:USER_SGPR: 6
; COMPUTE_PGM_RSRC2:TRAP_HANDLER: 0
; COMPUTE_PGM_RSRC2:TGID_X_EN: 1
; COMPUTE_PGM_RSRC2:TGID_Y_EN: 0
; COMPUTE_PGM_RSRC2:TGID_Z_EN: 0
; COMPUTE_PGM_RSRC2:TIDIG_COMP_CNT: 0
	.text
	.protected	batched_transpose_32x32_pack_2x2_ediv_1x1_half ; -- Begin function batched_transpose_32x32_pack_2x2_ediv_1x1_half
	.globl	batched_transpose_32x32_pack_2x2_ediv_1x1_half
	.p2align	8
	.type	batched_transpose_32x32_pack_2x2_ediv_1x1_half,@function
batched_transpose_32x32_pack_2x2_ediv_1x1_half: ; @batched_transpose_32x32_pack_2x2_ediv_1x1_half
; %bb.0:
	s_load_dwordx8 s[8:15], s[4:5], 0x10
	s_waitcnt lgkmcnt(0)
	s_cmp_ge_u32 s6, s11
	s_cbranch_scc1 .LBB33_19
; %bb.1:
	s_load_dwordx4 s[16:19], s[4:5], 0x0
	s_add_i32 s0, s8, 31
	s_lshr_b32 s7, s0, 5
	s_mov_b32 s1, 0
	v_lshrrev_b32_e32 v9, 4, v0
	s_lshl_b32 s0, s9, 4
	s_add_i32 s4, s9, 31
	v_and_b32_e32 v8, 15, v0
	s_lshl_b64 s[2:3], s[0:1], 1
	v_lshlrev_b32_e32 v0, 2, v9
	s_movk_i32 s0, 0x44
	s_waitcnt lgkmcnt(0)
	s_add_u32 s21, s18, s2
	v_mad_u32_u24 v10, v8, s0, v0
	v_lshlrev_b32_e32 v0, 2, v8
	s_addc_u32 s22, s19, s3
	v_mad_u32_u24 v11, v9, s0, v0
	s_lshl_b32 s0, s8, 4
	s_lshl_b64 s[0:1], s[0:1], 1
	s_add_u32 s23, s16, s0
	v_mov_b32_e32 v1, 0
	s_addc_u32 s24, s17, s1
	s_andn2_b32 s4, s4, 31
	v_mov_b32_e32 v0, v1
	v_mov_b32_e32 v3, v1
	s_mov_b32 s20, s9
	s_sub_i32 s25, 0, s4
	s_lshl_b32 s26, s6, 5
	s_lshl_b32 s27, s10, 5
	v_mov_b32_e32 v12, s8
	s_mov_b32 s28, 0xffff
	s_mov_b32 s29, 0x5040100
	;; [unrolled: 1-line block ×4, first 2 shown]
	v_mov_b32_e32 v2, v0
	s_branch .LBB33_3
.LBB33_2:                               ;   in Loop: Header=BB33_3 Depth=1
	s_or_b64 exec, exec, s[0:1]
	s_add_i32 s6, s6, s10
	s_add_i32 s26, s26, s27
	s_cmp_lt_u32 s6, s11
	s_cbranch_scc0 .LBB33_19
.LBB33_3:                               ; =>This Inner Loop Header: Depth=1
	s_mul_hi_u32 s0, s14, s6
	s_add_i32 s0, s6, s0
	s_lshr_b32 s0, s0, s15
	s_mul_hi_u32 s1, s0, s12
	s_add_i32 s1, s0, s1
	s_lshr_b32 s33, s1, s13
	s_mul_i32 s1, s33, s7
	s_sub_i32 s1, s0, s1
	s_lshl_b32 s34, s1, 5
	v_or_b32_e32 v0, s34, v9
	s_mul_i32 s35, s25, s0
	v_mad_u64_u32 v[4:5], s[0:1], s33, v12, v[0:1]
	s_add_i32 s35, s35, s26
	v_add_u32_e32 v6, s35, v8
	s_waitcnt lgkmcnt(0)
	v_mov_b32_e32 v7, v1
	v_mad_u64_u32 v[13:14], s[0:1], v4, s20, v[6:7]
	v_cmp_gt_u32_e64 s[2:3], s8, v0
	v_cmp_gt_u32_e32 vcc, s9, v6
	v_mov_b32_e32 v4, v14
	v_mad_u64_u32 v[4:5], s[0:1], v5, s20, v[4:5]
	s_and_b64 s[0:1], s[2:3], vcc
	v_mov_b32_e32 v14, v4
	v_lshlrev_b64 v[4:5], 1, v[13:14]
	s_waitcnt vmcnt(0)
	s_barrier
	s_and_saveexec_b64 s[4:5], s[0:1]
	s_cbranch_execz .LBB33_5
; %bb.4:                                ;   in Loop: Header=BB33_3 Depth=1
	v_mov_b32_e32 v7, s19
	v_add_co_u32_e64 v13, s[0:1], s18, v4
	v_addc_co_u32_e64 v14, s[0:1], v7, v5, s[0:1]
	global_load_ushort v7, v[13:14], off
	s_waitcnt vmcnt(0)
	v_bfi_b32 v2, s28, v7, v2
.LBB33_5:                               ;   in Loop: Header=BB33_3 Depth=1
	s_or_b64 exec, exec, s[4:5]
	v_add_u32_e32 v6, 16, v6
	v_cmp_gt_u32_e64 s[0:1], s9, v6
	s_and_b64 s[2:3], s[2:3], s[0:1]
	s_and_saveexec_b64 s[4:5], s[2:3]
	s_cbranch_execz .LBB33_7
; %bb.6:                                ;   in Loop: Header=BB33_3 Depth=1
	v_mov_b32_e32 v7, s19
	v_add_co_u32_e64 v6, s[2:3], s18, v4
	v_addc_co_u32_e64 v7, s[2:3], v7, v5, s[2:3]
	global_load_ushort v6, v[6:7], off offset:32
	s_waitcnt vmcnt(0)
	v_perm_b32 v2, v6, v2, s29
.LBB33_7:                               ;   in Loop: Header=BB33_3 Depth=1
	s_or_b64 exec, exec, s[4:5]
	v_add_u32_e32 v0, 16, v0
	v_cmp_gt_u32_e64 s[2:3], s8, v0
	s_and_b64 s[36:37], s[2:3], vcc
	s_and_saveexec_b64 s[4:5], s[36:37]
	s_cbranch_execz .LBB33_9
; %bb.8:                                ;   in Loop: Header=BB33_3 Depth=1
	v_mov_b32_e32 v0, s22
	v_add_co_u32_e32 v6, vcc, s21, v4
	v_addc_co_u32_e32 v7, vcc, v0, v5, vcc
	global_load_ushort v0, v[6:7], off
	s_waitcnt vmcnt(0)
	v_bfi_b32 v3, s28, v0, v3
.LBB33_9:                               ;   in Loop: Header=BB33_3 Depth=1
	s_or_b64 exec, exec, s[4:5]
	s_and_b64 s[2:3], s[2:3], s[0:1]
	s_and_saveexec_b64 s[0:1], s[2:3]
	s_cbranch_execz .LBB33_11
; %bb.10:                               ;   in Loop: Header=BB33_3 Depth=1
	v_mov_b32_e32 v0, s22
	v_add_co_u32_e32 v4, vcc, s21, v4
	v_addc_co_u32_e32 v5, vcc, v0, v5, vcc
	global_load_ushort v0, v[4:5], off offset:32
	s_waitcnt vmcnt(0)
	v_perm_b32 v3, v0, v3, s29
.LBB33_11:                              ;   in Loop: Header=BB33_3 Depth=1
	s_or_b64 exec, exec, s[0:1]
	v_add_u32_e32 v0, s35, v9
	v_mov_b32_e32 v4, s20
	v_mad_u64_u32 v[4:5], s[0:1], s33, v4, v[0:1]
	v_or_b32_e32 v6, s34, v8
	v_mov_b32_e32 v7, v1
	v_mad_u64_u32 v[14:15], s[0:1], v4, s8, v[6:7]
	v_perm_b32 v13, v2, v3, s30
	v_perm_b32 v4, v2, v3, s31
	ds_write_b32 v10, v13
	ds_write_b32 v10, v4 offset:1088
	v_mov_b32_e32 v4, v15
	v_mad_u64_u32 v[4:5], s[0:1], v5, s8, v[4:5]
	s_waitcnt lgkmcnt(0)
	s_barrier
	ds_read_b32 v13, v11
	ds_read_b32 v7, v11 offset:1088
	v_mov_b32_e32 v15, v4
	v_cmp_gt_u32_e32 vcc, s8, v6
	v_cmp_gt_u32_e64 s[2:3], s9, v0
	v_lshlrev_b64 v[4:5], 1, v[14:15]
	s_and_b64 s[0:1], s[2:3], vcc
	s_and_saveexec_b64 s[4:5], s[0:1]
	s_cbranch_execz .LBB33_13
; %bb.12:                               ;   in Loop: Header=BB33_3 Depth=1
	v_mov_b32_e32 v15, s17
	v_add_co_u32_e64 v14, s[0:1], s16, v4
	v_addc_co_u32_e64 v15, s[0:1], v15, v5, s[0:1]
	s_waitcnt lgkmcnt(1)
	global_store_short v[14:15], v13, off
.LBB33_13:                              ;   in Loop: Header=BB33_3 Depth=1
	s_or_b64 exec, exec, s[4:5]
	v_or_b32_e32 v6, 16, v6
	v_cmp_gt_u32_e64 s[0:1], s8, v6
	s_and_b64 s[2:3], s[2:3], s[0:1]
	s_and_saveexec_b64 s[4:5], s[2:3]
	s_cbranch_execz .LBB33_15
; %bb.14:                               ;   in Loop: Header=BB33_3 Depth=1
	v_mov_b32_e32 v6, s17
	v_add_co_u32_e64 v14, s[2:3], s16, v4
	v_addc_co_u32_e64 v15, s[2:3], v6, v5, s[2:3]
	s_waitcnt lgkmcnt(1)
	global_store_short_d16_hi v[14:15], v13, off offset:32
.LBB33_15:                              ;   in Loop: Header=BB33_3 Depth=1
	s_or_b64 exec, exec, s[4:5]
	v_add_u32_e32 v0, 16, v0
	v_cmp_gt_u32_e64 s[2:3], s9, v0
	s_and_b64 s[34:35], s[2:3], vcc
	s_and_saveexec_b64 s[4:5], s[34:35]
	s_cbranch_execz .LBB33_17
; %bb.16:                               ;   in Loop: Header=BB33_3 Depth=1
	v_mov_b32_e32 v0, s24
	s_waitcnt lgkmcnt(1)
	v_add_co_u32_e32 v13, vcc, s23, v4
	v_addc_co_u32_e32 v14, vcc, v0, v5, vcc
	s_waitcnt lgkmcnt(0)
	global_store_short v[13:14], v7, off
.LBB33_17:                              ;   in Loop: Header=BB33_3 Depth=1
	s_or_b64 exec, exec, s[4:5]
	s_and_b64 s[2:3], s[2:3], s[0:1]
	s_and_saveexec_b64 s[0:1], s[2:3]
	s_cbranch_execz .LBB33_2
; %bb.18:                               ;   in Loop: Header=BB33_3 Depth=1
	v_mov_b32_e32 v0, s24
	v_add_co_u32_e32 v4, vcc, s23, v4
	v_addc_co_u32_e32 v5, vcc, v0, v5, vcc
	s_waitcnt lgkmcnt(0)
	global_store_short_d16_hi v[4:5], v7, off offset:32
	s_branch .LBB33_2
.LBB33_19:
	s_endpgm
	.section	.rodata,"a",@progbits
	.p2align	6, 0x0
	.amdhsa_kernel batched_transpose_32x32_pack_2x2_ediv_1x1_half
		.amdhsa_group_segment_fixed_size 2176
		.amdhsa_private_segment_fixed_size 0
		.amdhsa_kernarg_size 48
		.amdhsa_user_sgpr_count 6
		.amdhsa_user_sgpr_private_segment_buffer 1
		.amdhsa_user_sgpr_dispatch_ptr 0
		.amdhsa_user_sgpr_queue_ptr 0
		.amdhsa_user_sgpr_kernarg_segment_ptr 1
		.amdhsa_user_sgpr_dispatch_id 0
		.amdhsa_user_sgpr_flat_scratch_init 0
		.amdhsa_user_sgpr_private_segment_size 0
		.amdhsa_uses_dynamic_stack 0
		.amdhsa_system_sgpr_private_segment_wavefront_offset 0
		.amdhsa_system_sgpr_workgroup_id_x 1
		.amdhsa_system_sgpr_workgroup_id_y 0
		.amdhsa_system_sgpr_workgroup_id_z 0
		.amdhsa_system_sgpr_workgroup_info 0
		.amdhsa_system_vgpr_workitem_id 0
		.amdhsa_next_free_vgpr 16
		.amdhsa_next_free_sgpr 38
		.amdhsa_reserve_vcc 1
		.amdhsa_reserve_flat_scratch 0
		.amdhsa_float_round_mode_32 0
		.amdhsa_float_round_mode_16_64 0
		.amdhsa_float_denorm_mode_32 3
		.amdhsa_float_denorm_mode_16_64 3
		.amdhsa_dx10_clamp 1
		.amdhsa_ieee_mode 1
		.amdhsa_fp16_overflow 0
		.amdhsa_exception_fp_ieee_invalid_op 0
		.amdhsa_exception_fp_denorm_src 0
		.amdhsa_exception_fp_ieee_div_zero 0
		.amdhsa_exception_fp_ieee_overflow 0
		.amdhsa_exception_fp_ieee_underflow 0
		.amdhsa_exception_fp_ieee_inexact 0
		.amdhsa_exception_int_div_zero 0
	.end_amdhsa_kernel
	.text
.Lfunc_end33:
	.size	batched_transpose_32x32_pack_2x2_ediv_1x1_half, .Lfunc_end33-batched_transpose_32x32_pack_2x2_ediv_1x1_half
                                        ; -- End function
	.set batched_transpose_32x32_pack_2x2_ediv_1x1_half.num_vgpr, 16
	.set batched_transpose_32x32_pack_2x2_ediv_1x1_half.num_agpr, 0
	.set batched_transpose_32x32_pack_2x2_ediv_1x1_half.numbered_sgpr, 38
	.set batched_transpose_32x32_pack_2x2_ediv_1x1_half.num_named_barrier, 0
	.set batched_transpose_32x32_pack_2x2_ediv_1x1_half.private_seg_size, 0
	.set batched_transpose_32x32_pack_2x2_ediv_1x1_half.uses_vcc, 1
	.set batched_transpose_32x32_pack_2x2_ediv_1x1_half.uses_flat_scratch, 0
	.set batched_transpose_32x32_pack_2x2_ediv_1x1_half.has_dyn_sized_stack, 0
	.set batched_transpose_32x32_pack_2x2_ediv_1x1_half.has_recursion, 0
	.set batched_transpose_32x32_pack_2x2_ediv_1x1_half.has_indirect_call, 0
	.section	.AMDGPU.csdata,"",@progbits
; Kernel info:
; codeLenInByte = 896
; TotalNumSgprs: 42
; NumVgprs: 16
; ScratchSize: 0
; MemoryBound: 0
; FloatMode: 240
; IeeeMode: 1
; LDSByteSize: 2176 bytes/workgroup (compile time only)
; SGPRBlocks: 5
; VGPRBlocks: 3
; NumSGPRsForWavesPerEU: 42
; NumVGPRsForWavesPerEU: 16
; Occupancy: 10
; WaveLimiterHint : 0
; COMPUTE_PGM_RSRC2:SCRATCH_EN: 0
; COMPUTE_PGM_RSRC2:USER_SGPR: 6
; COMPUTE_PGM_RSRC2:TRAP_HANDLER: 0
; COMPUTE_PGM_RSRC2:TGID_X_EN: 1
; COMPUTE_PGM_RSRC2:TGID_Y_EN: 0
; COMPUTE_PGM_RSRC2:TGID_Z_EN: 0
; COMPUTE_PGM_RSRC2:TIDIG_COMP_CNT: 0
	.text
	.protected	batched_transpose_64x32_pack_4x2_ediv_4x2_half ; -- Begin function batched_transpose_64x32_pack_4x2_ediv_4x2_half
	.globl	batched_transpose_64x32_pack_4x2_ediv_4x2_half
	.p2align	8
	.type	batched_transpose_64x32_pack_4x2_ediv_4x2_half,@function
batched_transpose_64x32_pack_4x2_ediv_4x2_half: ; @batched_transpose_64x32_pack_4x2_ediv_4x2_half
; %bb.0:
	s_load_dwordx8 s[8:15], s[4:5], 0x10
	s_waitcnt lgkmcnt(0)
	s_cmp_ge_u32 s6, s11
	s_cbranch_scc1 .LBB34_7
; %bb.1:
	s_load_dwordx4 s[16:19], s[4:5], 0x0
	s_add_i32 s0, s8, 31
	s_add_i32 s20, s9, 63
	v_and_b32_e32 v4, 15, v0
	v_lshrrev_b32_e32 v0, 4, v0
	s_lshr_b32 s2, s8, 1
	s_lshr_b32 s7, s0, 5
	s_mov_b32 s5, 0
	v_lshlrev_b32_e32 v1, 2, v0
	s_movk_i32 s0, 0x44
	v_lshlrev_b32_e32 v2, 2, v4
	s_and_b32 s21, s20, 0xffffffc0
	s_lshr_b32 s20, s20, 2
	s_lshr_b32 s4, s9, 2
	v_mad_u32_u24 v6, v4, s0, v1
	v_mad_u32_u24 v7, v0, s0, v2
	s_mov_b32 s3, s5
	s_and_b32 s0, s8, -2
	s_mov_b32 s1, s5
	s_mul_i32 s26, s2, 3
	s_mov_b32 s27, s5
	s_and_b32 s20, s20, 0x3ffffff0
	v_lshlrev_b32_e32 v5, 1, v0
	s_mov_b32 s28, s9
	s_sub_i32 s29, 0, s21
	v_lshl_or_b32 v8, s6, 6, v1
	s_lshl_b32 s30, s10, 6
	s_sub_i32 s31, 0, s20
	v_lshl_or_b32 v9, s6, 4, v4
	s_lshl_b32 s33, s10, 4
	v_mov_b32_e32 v1, 0
	s_lshl_b64 s[20:21], s[4:5], 3
	s_mov_b32 s5, 0xffff0000
	s_mov_b32 s34, 0x3020706
	s_lshl_b64 s[22:23], s[2:3], 2
	s_lshl_b64 s[24:25], s[0:1], 2
	;; [unrolled: 1-line block ×3, first 2 shown]
	s_branch .LBB34_3
.LBB34_2:                               ;   in Loop: Header=BB34_3 Depth=1
	s_or_b64 exec, exec, s[0:1]
	s_add_i32 s6, s6, s10
	v_add_u32_e32 v8, s30, v8
	s_cmp_lt_u32 s6, s11
	v_add_u32_e32 v9, s33, v9
	s_cbranch_scc0 .LBB34_7
.LBB34_3:                               ; =>This Inner Loop Header: Depth=1
	s_mul_hi_u32 s0, s14, s6
	s_add_i32 s0, s6, s0
	s_lshr_b32 s35, s0, s15
	s_mul_hi_u32 s0, s35, s12
	s_add_i32 s0, s35, s0
	s_lshr_b32 s3, s0, s13
	s_mul_i32 s0, s3, s7
	s_sub_i32 s36, s35, s0
	s_mul_i32 s0, s31, s35
	v_add_u32_e32 v2, s0, v9
	v_lshl_or_b32 v0, s36, 5, v5
	v_cmp_gt_u32_e32 vcc, s8, v0
	v_cmp_gt_u32_e64 s[0:1], s4, v2
	s_and_b64 s[38:39], vcc, s[0:1]
	s_waitcnt vmcnt(0) lgkmcnt(0)
	s_barrier
	s_and_saveexec_b64 s[0:1], s[38:39]
	s_cbranch_execz .LBB34_5
; %bb.4:                                ;   in Loop: Header=BB34_3 Depth=1
	v_mov_b32_e32 v3, s8
	v_mad_u64_u32 v[10:11], s[38:39], s3, v3, v[0:1]
	v_mov_b32_e32 v3, v1
	v_lshlrev_b64 v[2:3], 3, v[2:3]
	v_mad_u64_u32 v[12:13], s[38:39], v10, s4, 0
	v_mov_b32_e32 v0, v13
	v_mad_u64_u32 v[10:11], s[38:39], v11, s4, v[0:1]
	v_mov_b32_e32 v0, s19
	v_mov_b32_e32 v13, v10
	v_lshlrev_b64 v[10:11], 3, v[12:13]
	v_add_co_u32_e32 v10, vcc, s18, v10
	v_addc_co_u32_e32 v0, vcc, v0, v11, vcc
	v_add_co_u32_e32 v2, vcc, v10, v2
	v_addc_co_u32_e32 v3, vcc, v0, v3, vcc
	global_load_dwordx2 v[10:11], v[2:3], off
	v_mov_b32_e32 v0, s21
	v_add_co_u32_e32 v2, vcc, s20, v2
	v_addc_co_u32_e32 v3, vcc, v3, v0, vcc
	global_load_dwordx2 v[2:3], v[2:3], off
	s_waitcnt vmcnt(1)
	v_and_b32_e32 v0, 0xffff, v10
	v_lshrrev_b32_e32 v10, 16, v10
	v_and_b32_e32 v12, 0xffff, v11
	s_waitcnt vmcnt(0)
	v_lshl_or_b32 v0, v2, 16, v0
	v_and_or_b32 v2, v2, s5, v10
	v_lshl_or_b32 v10, v3, 16, v12
	v_perm_b32 v3, v11, v3, s34
	ds_write_b32 v6, v0
	ds_write_b32 v6, v2 offset:1088
	ds_write_b32 v6, v10 offset:2176
	;; [unrolled: 1-line block ×3, first 2 shown]
.LBB34_5:                               ;   in Loop: Header=BB34_3 Depth=1
	s_or_b64 exec, exec, s[0:1]
	s_mul_i32 s0, s29, s35
	v_lshl_or_b32 v2, s36, 4, v4
	v_add_u32_e32 v0, s0, v8
	v_cmp_gt_u32_e32 vcc, s2, v2
	v_cmp_gt_u32_e64 s[0:1], s9, v0
	s_and_b64 s[36:37], vcc, s[0:1]
	s_waitcnt lgkmcnt(0)
	s_barrier
	s_and_saveexec_b64 s[0:1], s[36:37]
	s_cbranch_execz .LBB34_2
; %bb.6:                                ;   in Loop: Header=BB34_3 Depth=1
	v_mov_b32_e32 v3, s28
	v_mad_u64_u32 v[10:11], s[36:37], s3, v3, v[0:1]
	v_mov_b32_e32 v3, v1
	v_mov_b32_e32 v17, s17
	v_mad_u64_u32 v[12:13], s[36:37], v10, s2, 0
	v_lshlrev_b64 v[2:3], 2, v[2:3]
	v_mov_b32_e32 v0, v13
	v_mad_u64_u32 v[10:11], s[36:37], v11, s2, v[0:1]
	ds_read_b32 v0, v7
	ds_read_b32 v14, v7 offset:1088
	ds_read_b32 v15, v7 offset:2176
	;; [unrolled: 1-line block ×3, first 2 shown]
	v_mov_b32_e32 v13, v10
	v_lshlrev_b64 v[10:11], 2, v[12:13]
	v_add_co_u32_e32 v10, vcc, s16, v10
	v_addc_co_u32_e32 v11, vcc, v17, v11, vcc
	v_add_co_u32_e32 v2, vcc, v10, v2
	v_addc_co_u32_e32 v3, vcc, v11, v3, vcc
	s_waitcnt lgkmcnt(3)
	global_store_dword v[2:3], v0, off
	v_mov_b32_e32 v0, s23
	v_add_co_u32_e32 v10, vcc, s22, v2
	v_addc_co_u32_e32 v11, vcc, v3, v0, vcc
	s_waitcnt lgkmcnt(2)
	global_store_dword v[10:11], v14, off
	v_mov_b32_e32 v0, s25
	v_add_co_u32_e32 v10, vcc, s24, v2
	v_addc_co_u32_e32 v11, vcc, v3, v0, vcc
	v_mov_b32_e32 v0, s27
	v_add_co_u32_e32 v2, vcc, s26, v2
	v_addc_co_u32_e32 v3, vcc, v3, v0, vcc
	s_waitcnt lgkmcnt(1)
	global_store_dword v[10:11], v15, off
	s_waitcnt lgkmcnt(0)
	global_store_dword v[2:3], v16, off
	s_branch .LBB34_2
.LBB34_7:
	s_endpgm
	.section	.rodata,"a",@progbits
	.p2align	6, 0x0
	.amdhsa_kernel batched_transpose_64x32_pack_4x2_ediv_4x2_half
		.amdhsa_group_segment_fixed_size 4352
		.amdhsa_private_segment_fixed_size 0
		.amdhsa_kernarg_size 48
		.amdhsa_user_sgpr_count 6
		.amdhsa_user_sgpr_private_segment_buffer 1
		.amdhsa_user_sgpr_dispatch_ptr 0
		.amdhsa_user_sgpr_queue_ptr 0
		.amdhsa_user_sgpr_kernarg_segment_ptr 1
		.amdhsa_user_sgpr_dispatch_id 0
		.amdhsa_user_sgpr_flat_scratch_init 0
		.amdhsa_user_sgpr_private_segment_size 0
		.amdhsa_uses_dynamic_stack 0
		.amdhsa_system_sgpr_private_segment_wavefront_offset 0
		.amdhsa_system_sgpr_workgroup_id_x 1
		.amdhsa_system_sgpr_workgroup_id_y 0
		.amdhsa_system_sgpr_workgroup_id_z 0
		.amdhsa_system_sgpr_workgroup_info 0
		.amdhsa_system_vgpr_workitem_id 0
		.amdhsa_next_free_vgpr 18
		.amdhsa_next_free_sgpr 40
		.amdhsa_reserve_vcc 1
		.amdhsa_reserve_flat_scratch 0
		.amdhsa_float_round_mode_32 0
		.amdhsa_float_round_mode_16_64 0
		.amdhsa_float_denorm_mode_32 3
		.amdhsa_float_denorm_mode_16_64 3
		.amdhsa_dx10_clamp 1
		.amdhsa_ieee_mode 1
		.amdhsa_fp16_overflow 0
		.amdhsa_exception_fp_ieee_invalid_op 0
		.amdhsa_exception_fp_denorm_src 0
		.amdhsa_exception_fp_ieee_div_zero 0
		.amdhsa_exception_fp_ieee_overflow 0
		.amdhsa_exception_fp_ieee_underflow 0
		.amdhsa_exception_fp_ieee_inexact 0
		.amdhsa_exception_int_div_zero 0
	.end_amdhsa_kernel
	.text
.Lfunc_end34:
	.size	batched_transpose_64x32_pack_4x2_ediv_4x2_half, .Lfunc_end34-batched_transpose_64x32_pack_4x2_ediv_4x2_half
                                        ; -- End function
	.set batched_transpose_64x32_pack_4x2_ediv_4x2_half.num_vgpr, 18
	.set batched_transpose_64x32_pack_4x2_ediv_4x2_half.num_agpr, 0
	.set batched_transpose_64x32_pack_4x2_ediv_4x2_half.numbered_sgpr, 40
	.set batched_transpose_64x32_pack_4x2_ediv_4x2_half.num_named_barrier, 0
	.set batched_transpose_64x32_pack_4x2_ediv_4x2_half.private_seg_size, 0
	.set batched_transpose_64x32_pack_4x2_ediv_4x2_half.uses_vcc, 1
	.set batched_transpose_64x32_pack_4x2_ediv_4x2_half.uses_flat_scratch, 0
	.set batched_transpose_64x32_pack_4x2_ediv_4x2_half.has_dyn_sized_stack, 0
	.set batched_transpose_64x32_pack_4x2_ediv_4x2_half.has_recursion, 0
	.set batched_transpose_64x32_pack_4x2_ediv_4x2_half.has_indirect_call, 0
	.section	.AMDGPU.csdata,"",@progbits
; Kernel info:
; codeLenInByte = 760
; TotalNumSgprs: 44
; NumVgprs: 18
; ScratchSize: 0
; MemoryBound: 0
; FloatMode: 240
; IeeeMode: 1
; LDSByteSize: 4352 bytes/workgroup (compile time only)
; SGPRBlocks: 5
; VGPRBlocks: 4
; NumSGPRsForWavesPerEU: 44
; NumVGPRsForWavesPerEU: 18
; Occupancy: 10
; WaveLimiterHint : 0
; COMPUTE_PGM_RSRC2:SCRATCH_EN: 0
; COMPUTE_PGM_RSRC2:USER_SGPR: 6
; COMPUTE_PGM_RSRC2:TRAP_HANDLER: 0
; COMPUTE_PGM_RSRC2:TGID_X_EN: 1
; COMPUTE_PGM_RSRC2:TGID_Y_EN: 0
; COMPUTE_PGM_RSRC2:TGID_Z_EN: 0
; COMPUTE_PGM_RSRC2:TIDIG_COMP_CNT: 0
	.text
	.protected	batched_transpose_64x32_pack_4x2_ediv_2x2_half ; -- Begin function batched_transpose_64x32_pack_4x2_ediv_2x2_half
	.globl	batched_transpose_64x32_pack_4x2_ediv_2x2_half
	.p2align	8
	.type	batched_transpose_64x32_pack_4x2_ediv_2x2_half,@function
batched_transpose_64x32_pack_4x2_ediv_2x2_half: ; @batched_transpose_64x32_pack_4x2_ediv_2x2_half
; %bb.0:
	s_load_dwordx8 s[8:15], s[4:5], 0x10
	s_waitcnt lgkmcnt(0)
	s_cmp_ge_u32 s6, s11
	s_cbranch_scc1 .LBB35_11
; %bb.1:
	s_add_i32 s0, s8, 31
	s_lshr_b32 s7, s0, 5
	v_and_b32_e32 v10, 15, v0
	v_lshrrev_b32_e32 v1, 4, v0
	v_and_b32_e32 v0, 0xf0, v0
	s_movk_i32 s0, 0x110
	s_load_dwordx4 s[16:19], s[4:5], 0x0
	v_mad_u32_u24 v12, v10, s0, v0
	v_lshlrev_b32_e32 v0, 4, v10
	s_add_i32 s20, s9, 63
	v_lshlrev_b32_e32 v11, 1, v1
	v_mad_u32_u24 v13, v1, s0, v0
	v_mov_b32_e32 v1, 0
	s_lshr_b32 s2, s8, 1
	s_mov_b32 s5, 0
	s_and_b32 s21, s20, 0xffffffc0
	s_lshr_b32 s20, s20, 1
	v_mov_b32_e32 v2, v1
	v_mov_b32_e32 v3, v1
	s_lshr_b32 s4, s9, 1
	s_mov_b32 s3, s5
	s_lshl_b32 s0, s2, 5
	s_mov_b32 s1, s5
	s_mul_i32 s24, s2, 33
	s_mov_b32 s25, s5
	s_and_b32 s20, s20, 0x7fffffe0
	v_mov_b32_e32 v0, v1
	v_mov_b32_e32 v5, v3
	s_sub_i32 s30, 0, s21
	v_lshl_or_b32 v14, s6, 6, v11
	s_lshl_b32 s31, s10, 6
	s_sub_i32 s33, 0, s20
	v_lshl_or_b32 v15, s6, 5, v10
	s_lshl_b32 s34, s10, 5
	v_mov_b32_e32 v16, s8
	s_lshl_b64 s[20:21], s[4:5], 2
	s_mov_b32 s5, 0xffff0000
	v_mov_b32_e32 v17, s9
	s_lshl_b64 s[22:23], s[2:3], 2
	s_lshl_b64 s[24:25], s[24:25], 2
	s_lshl_b64 s[26:27], s[0:1], 2
	v_mov_b32_e32 v4, v2
	v_mov_b32_e32 v3, v1
	;; [unrolled: 1-line block ×3, first 2 shown]
	s_branch .LBB35_3
.LBB35_2:                               ;   in Loop: Header=BB35_3 Depth=1
	s_or_b64 exec, exec, s[0:1]
	s_add_i32 s6, s6, s10
	v_add_u32_e32 v14, s31, v14
	s_cmp_lt_u32 s6, s11
	v_add_u32_e32 v15, s34, v15
	s_cbranch_scc0 .LBB35_11
.LBB35_3:                               ; =>This Inner Loop Header: Depth=1
	s_mul_hi_u32 s0, s14, s6
	s_add_i32 s0, s6, s0
	s_lshr_b32 s36, s0, s15
	s_mul_hi_u32 s0, s36, s12
	s_add_i32 s0, s36, s0
	s_lshr_b32 s3, s0, s13
	s_mul_i32 s0, s3, s7
	s_sub_i32 s35, s36, s0
	v_lshl_or_b32 v0, s35, 5, v11
	v_mad_u64_u32 v[8:9], s[0:1], s3, v16, v[0:1]
	s_mul_i32 s28, s33, s36
	s_waitcnt lgkmcnt(0)
	v_add_u32_e32 v6, s28, v15
	v_mov_b32_e32 v7, v1
	v_mad_u64_u32 v[7:8], s[0:1], v8, s4, v[6:7]
	v_cmp_gt_u32_e32 vcc, s8, v0
	s_waitcnt lgkmcnt(0)
	v_mad_u64_u32 v[8:9], s[0:1], v9, s4, v[8:9]
	v_cmp_gt_u32_e64 s[0:1], s4, v6
	s_and_b64 s[0:1], vcc, s[0:1]
	v_lshlrev_b64 v[7:8], 2, v[7:8]
	s_waitcnt vmcnt(0)
	s_barrier
	s_and_saveexec_b64 s[28:29], s[0:1]
	s_cbranch_execz .LBB35_5
; %bb.4:                                ;   in Loop: Header=BB35_3 Depth=1
	v_mov_b32_e32 v0, s19
	v_add_co_u32_e64 v18, s[0:1], s18, v7
	v_addc_co_u32_e64 v19, s[0:1], v0, v8, s[0:1]
	v_mov_b32_e32 v0, s21
	v_add_co_u32_e64 v20, s[0:1], s20, v18
	v_addc_co_u32_e64 v21, s[0:1], v19, v0, s[0:1]
	global_load_dword v2, v[18:19], off
	global_load_dword v3, v[20:21], off
.LBB35_5:                               ;   in Loop: Header=BB35_3 Depth=1
	s_or_b64 exec, exec, s[28:29]
	v_add_u32_e32 v0, 16, v6
	v_cmp_gt_u32_e64 s[0:1], s4, v0
	s_and_b64 s[28:29], vcc, s[0:1]
	s_and_saveexec_b64 s[0:1], s[28:29]
	s_cbranch_execz .LBB35_7
; %bb.6:                                ;   in Loop: Header=BB35_3 Depth=1
	v_mov_b32_e32 v0, s19
	v_add_co_u32_e32 v6, vcc, s18, v7
	v_addc_co_u32_e32 v7, vcc, v0, v8, vcc
	v_mov_b32_e32 v0, s21
	v_add_co_u32_e32 v8, vcc, s20, v6
	v_addc_co_u32_e32 v9, vcc, v7, v0, vcc
	global_load_dword v4, v[6:7], off offset:64
	global_load_dword v5, v[8:9], off offset:64
.LBB35_7:                               ;   in Loop: Header=BB35_3 Depth=1
	s_or_b64 exec, exec, s[0:1]
	s_waitcnt vmcnt(1)
	v_and_b32_e32 v0, 0xffff, v2
	s_waitcnt vmcnt(0)
	v_lshl_or_b32 v6, v3, 16, v0
	v_lshrrev_b32_e32 v0, 16, v2
	v_and_or_b32 v7, v3, s5, v0
	v_and_b32_e32 v0, 0xffff, v4
	v_lshl_or_b32 v8, v5, 16, v0
	v_lshrrev_b32_e32 v0, 16, v4
	s_mul_i32 s0, s30, s36
	v_and_or_b32 v9, v5, s5, v0
	v_add_u32_e32 v0, s0, v14
	ds_write_b128 v12, v[6:9]
	v_mad_u64_u32 v[6:7], s[0:1], s3, v17, v[0:1]
	v_lshl_or_b32 v8, s35, 4, v10
	v_mov_b32_e32 v9, v1
	v_mad_u64_u32 v[18:19], s[0:1], v6, s2, v[8:9]
	s_waitcnt lgkmcnt(0)
	s_barrier
	v_mov_b32_e32 v6, v19
	v_mad_u64_u32 v[6:7], s[0:1], v7, s2, v[6:7]
	v_cmp_gt_u32_e32 vcc, s2, v8
	v_mov_b32_e32 v19, v6
	ds_read_b64 v[6:7], v13 offset:8
	v_cmp_gt_u32_e64 s[0:1], s9, v0
	v_lshlrev_b64 v[8:9], 2, v[18:19]
	s_and_b64 s[0:1], vcc, s[0:1]
	s_and_saveexec_b64 s[28:29], s[0:1]
	s_cbranch_execz .LBB35_9
; %bb.8:                                ;   in Loop: Header=BB35_3 Depth=1
	ds_read_b64 v[22:23], v13
	v_add_co_u32_e64 v18, s[0:1], s16, v8
	v_mov_b32_e32 v19, s17
	v_addc_co_u32_e64 v19, s[0:1], v19, v9, s[0:1]
	v_add_co_u32_e64 v20, s[0:1], s22, v18
	v_mov_b32_e32 v21, s23
	v_addc_co_u32_e64 v21, s[0:1], v19, v21, s[0:1]
	s_waitcnt lgkmcnt(0)
	global_store_dword v[18:19], v22, off
	global_store_dword v[20:21], v23, off
.LBB35_9:                               ;   in Loop: Header=BB35_3 Depth=1
	s_or_b64 exec, exec, s[28:29]
	v_add_u32_e32 v0, 32, v0
	v_cmp_gt_u32_e64 s[0:1], s9, v0
	s_and_b64 s[28:29], vcc, s[0:1]
	s_and_saveexec_b64 s[0:1], s[28:29]
	s_cbranch_execz .LBB35_2
; %bb.10:                               ;   in Loop: Header=BB35_3 Depth=1
	v_mov_b32_e32 v0, s17
	v_add_co_u32_e32 v18, vcc, s16, v8
	v_addc_co_u32_e32 v0, vcc, v0, v9, vcc
	v_mov_b32_e32 v9, s25
	v_add_co_u32_e32 v8, vcc, s24, v18
	v_addc_co_u32_e32 v9, vcc, v0, v9, vcc
	;; [unrolled: 3-line block ×3, first 2 shown]
	s_waitcnt lgkmcnt(0)
	global_store_dword v[18:19], v6, off
	global_store_dword v[8:9], v7, off
	s_branch .LBB35_2
.LBB35_11:
	s_endpgm
	.section	.rodata,"a",@progbits
	.p2align	6, 0x0
	.amdhsa_kernel batched_transpose_64x32_pack_4x2_ediv_2x2_half
		.amdhsa_group_segment_fixed_size 4352
		.amdhsa_private_segment_fixed_size 0
		.amdhsa_kernarg_size 48
		.amdhsa_user_sgpr_count 6
		.amdhsa_user_sgpr_private_segment_buffer 1
		.amdhsa_user_sgpr_dispatch_ptr 0
		.amdhsa_user_sgpr_queue_ptr 0
		.amdhsa_user_sgpr_kernarg_segment_ptr 1
		.amdhsa_user_sgpr_dispatch_id 0
		.amdhsa_user_sgpr_flat_scratch_init 0
		.amdhsa_user_sgpr_private_segment_size 0
		.amdhsa_uses_dynamic_stack 0
		.amdhsa_system_sgpr_private_segment_wavefront_offset 0
		.amdhsa_system_sgpr_workgroup_id_x 1
		.amdhsa_system_sgpr_workgroup_id_y 0
		.amdhsa_system_sgpr_workgroup_id_z 0
		.amdhsa_system_sgpr_workgroup_info 0
		.amdhsa_system_vgpr_workitem_id 0
		.amdhsa_next_free_vgpr 24
		.amdhsa_next_free_sgpr 37
		.amdhsa_reserve_vcc 1
		.amdhsa_reserve_flat_scratch 0
		.amdhsa_float_round_mode_32 0
		.amdhsa_float_round_mode_16_64 0
		.amdhsa_float_denorm_mode_32 3
		.amdhsa_float_denorm_mode_16_64 3
		.amdhsa_dx10_clamp 1
		.amdhsa_ieee_mode 1
		.amdhsa_fp16_overflow 0
		.amdhsa_exception_fp_ieee_invalid_op 0
		.amdhsa_exception_fp_denorm_src 0
		.amdhsa_exception_fp_ieee_div_zero 0
		.amdhsa_exception_fp_ieee_overflow 0
		.amdhsa_exception_fp_ieee_underflow 0
		.amdhsa_exception_fp_ieee_inexact 0
		.amdhsa_exception_int_div_zero 0
	.end_amdhsa_kernel
	.text
.Lfunc_end35:
	.size	batched_transpose_64x32_pack_4x2_ediv_2x2_half, .Lfunc_end35-batched_transpose_64x32_pack_4x2_ediv_2x2_half
                                        ; -- End function
	.set batched_transpose_64x32_pack_4x2_ediv_2x2_half.num_vgpr, 24
	.set batched_transpose_64x32_pack_4x2_ediv_2x2_half.num_agpr, 0
	.set batched_transpose_64x32_pack_4x2_ediv_2x2_half.numbered_sgpr, 37
	.set batched_transpose_64x32_pack_4x2_ediv_2x2_half.num_named_barrier, 0
	.set batched_transpose_64x32_pack_4x2_ediv_2x2_half.private_seg_size, 0
	.set batched_transpose_64x32_pack_4x2_ediv_2x2_half.uses_vcc, 1
	.set batched_transpose_64x32_pack_4x2_ediv_2x2_half.uses_flat_scratch, 0
	.set batched_transpose_64x32_pack_4x2_ediv_2x2_half.has_dyn_sized_stack, 0
	.set batched_transpose_64x32_pack_4x2_ediv_2x2_half.has_recursion, 0
	.set batched_transpose_64x32_pack_4x2_ediv_2x2_half.has_indirect_call, 0
	.section	.AMDGPU.csdata,"",@progbits
; Kernel info:
; codeLenInByte = 844
; TotalNumSgprs: 41
; NumVgprs: 24
; ScratchSize: 0
; MemoryBound: 0
; FloatMode: 240
; IeeeMode: 1
; LDSByteSize: 4352 bytes/workgroup (compile time only)
; SGPRBlocks: 5
; VGPRBlocks: 5
; NumSGPRsForWavesPerEU: 41
; NumVGPRsForWavesPerEU: 24
; Occupancy: 10
; WaveLimiterHint : 0
; COMPUTE_PGM_RSRC2:SCRATCH_EN: 0
; COMPUTE_PGM_RSRC2:USER_SGPR: 6
; COMPUTE_PGM_RSRC2:TRAP_HANDLER: 0
; COMPUTE_PGM_RSRC2:TGID_X_EN: 1
; COMPUTE_PGM_RSRC2:TGID_Y_EN: 0
; COMPUTE_PGM_RSRC2:TGID_Z_EN: 0
; COMPUTE_PGM_RSRC2:TIDIG_COMP_CNT: 0
	.text
	.protected	batched_transpose_64x32_pack_4x2_ediv_2x1_half ; -- Begin function batched_transpose_64x32_pack_4x2_ediv_2x1_half
	.globl	batched_transpose_64x32_pack_4x2_ediv_2x1_half
	.p2align	8
	.type	batched_transpose_64x32_pack_4x2_ediv_2x1_half,@function
batched_transpose_64x32_pack_4x2_ediv_2x1_half: ; @batched_transpose_64x32_pack_4x2_ediv_2x1_half
; %bb.0:
	s_load_dwordx8 s[8:15], s[4:5], 0x10
	s_waitcnt lgkmcnt(0)
	s_cmp_ge_u32 s6, s11
	s_cbranch_scc1 .LBB36_19
; %bb.1:
	s_load_dwordx4 s[16:19], s[4:5], 0x0
	s_lshr_b32 s7, s9, 1
	s_add_i32 s0, s8, 31
	s_mov_b32 s5, 0
	s_lshr_b32 s28, s0, 5
	s_lshl_b32 s0, s7, 4
	s_mov_b32 s1, s5
	s_add_i32 s20, s9, 63
	v_and_b32_e32 v12, 15, v0
	s_lshl_b64 s[0:1], s[0:1], 2
	v_lshrrev_b32_e32 v13, 4, v0
	s_waitcnt lgkmcnt(0)
	s_add_u32 s29, s18, s0
	s_movk_i32 s0, 0x110
	v_lshlrev_b32_e32 v1, 4, v12
	v_and_b32_e32 v0, 0xf0, v0
	v_mad_u32_u24 v15, v13, s0, v1
	v_mov_b32_e32 v1, 0
	s_addc_u32 s30, s19, s1
	v_mad_u32_u24 v14, v12, s0, v0
	v_lshlrev_b32_e32 v0, 1, v13
	s_and_b32 s21, s20, 0xffffffc0
	s_lshr_b32 s20, s20, 1
	v_mov_b32_e32 v2, v1
	v_mov_b32_e32 v3, v1
	s_mov_b32 s4, s8
	s_lshl_b32 s0, s8, 5
	s_mov_b32 s1, s5
	s_mul_i32 s2, s8, 33
	s_mov_b32 s3, s5
	v_lshl_or_b32 v16, s6, 6, v0
	s_and_b32 s20, s20, 0x7fffffe0
	v_mov_b32_e32 v0, v1
	v_mov_b32_e32 v5, v3
	s_mov_b32 s31, s9
	s_sub_i32 s33, 0, s21
	s_lshl_b32 s34, s10, 6
	s_sub_i32 s35, 0, s20
	v_lshl_or_b32 v17, s6, 5, v12
	s_lshl_b32 s36, s10, 5
	v_mov_b32_e32 v18, s8
	s_mov_b32 s37, 0xffff0000
	s_lshl_b64 s[20:21], s[4:5], 1
	s_lshl_b64 s[22:23], s[2:3], 1
	;; [unrolled: 1-line block ×3, first 2 shown]
	v_mov_b32_e32 v4, v2
	v_mov_b32_e32 v3, v1
	;; [unrolled: 1-line block ×3, first 2 shown]
	s_branch .LBB36_3
.LBB36_2:                               ;   in Loop: Header=BB36_3 Depth=1
	s_or_b64 exec, exec, s[0:1]
	s_add_i32 s6, s6, s10
	v_add_u32_e32 v16, s34, v16
	s_cmp_lt_u32 s6, s11
	v_add_u32_e32 v17, s36, v17
	s_cbranch_scc0 .LBB36_19
.LBB36_3:                               ; =>This Inner Loop Header: Depth=1
	s_mul_hi_u32 s0, s14, s6
	s_add_i32 s0, s6, s0
	s_lshr_b32 s38, s0, s15
	s_mul_hi_u32 s0, s38, s12
	s_add_i32 s0, s38, s0
	s_lshr_b32 s5, s0, s13
	s_mul_i32 s0, s5, s28
	s_sub_i32 s0, s38, s0
	s_lshl_b32 s39, s0, 5
	v_or_b32_e32 v0, s39, v13
	s_waitcnt lgkmcnt(1)
	v_mad_u64_u32 v[6:7], s[0:1], s5, v18, v[0:1]
	s_mul_i32 s2, s35, s38
	v_add_u32_e32 v8, s2, v17
	v_mov_b32_e32 v9, v1
	v_mad_u64_u32 v[9:10], s[0:1], v6, s7, v[8:9]
	v_cmp_gt_u32_e64 s[2:3], s8, v0
	v_cmp_gt_u32_e32 vcc, s7, v8
	v_mov_b32_e32 v6, v10
	v_mad_u64_u32 v[6:7], s[0:1], v7, s7, v[6:7]
	s_and_b64 s[0:1], s[2:3], vcc
	v_mov_b32_e32 v10, v6
	v_lshlrev_b64 v[6:7], 2, v[9:10]
	s_waitcnt vmcnt(0) lgkmcnt(0)
	s_barrier
	s_and_saveexec_b64 s[26:27], s[0:1]
	s_cbranch_execz .LBB36_5
; %bb.4:                                ;   in Loop: Header=BB36_3 Depth=1
	v_mov_b32_e32 v2, s19
	v_add_co_u32_e64 v9, s[0:1], s18, v6
	v_addc_co_u32_e64 v10, s[0:1], v2, v7, s[0:1]
	global_load_dword v2, v[9:10], off
.LBB36_5:                               ;   in Loop: Header=BB36_3 Depth=1
	s_or_b64 exec, exec, s[26:27]
	v_add_u32_e32 v8, 16, v8
	v_cmp_gt_u32_e64 s[0:1], s7, v8
	s_and_b64 s[2:3], s[2:3], s[0:1]
	s_and_saveexec_b64 s[26:27], s[2:3]
	s_cbranch_execz .LBB36_7
; %bb.6:                                ;   in Loop: Header=BB36_3 Depth=1
	v_mov_b32_e32 v4, s19
	v_add_co_u32_e64 v8, s[2:3], s18, v6
	v_addc_co_u32_e64 v9, s[2:3], v4, v7, s[2:3]
	global_load_dword v4, v[8:9], off offset:64
.LBB36_7:                               ;   in Loop: Header=BB36_3 Depth=1
	s_or_b64 exec, exec, s[26:27]
	v_add_u32_e32 v0, 16, v0
	v_cmp_gt_u32_e64 s[2:3], s8, v0
	s_and_b64 s[40:41], s[2:3], vcc
	s_and_saveexec_b64 s[26:27], s[40:41]
	s_cbranch_execz .LBB36_9
; %bb.8:                                ;   in Loop: Header=BB36_3 Depth=1
	v_mov_b32_e32 v0, s30
	v_add_co_u32_e32 v8, vcc, s29, v6
	v_addc_co_u32_e32 v9, vcc, v0, v7, vcc
	global_load_dword v3, v[8:9], off
.LBB36_9:                               ;   in Loop: Header=BB36_3 Depth=1
	s_or_b64 exec, exec, s[26:27]
	s_and_b64 s[2:3], s[2:3], s[0:1]
	s_and_saveexec_b64 s[0:1], s[2:3]
	s_cbranch_execz .LBB36_11
; %bb.10:                               ;   in Loop: Header=BB36_3 Depth=1
	v_mov_b32_e32 v0, s30
	v_add_co_u32_e32 v5, vcc, s29, v6
	v_addc_co_u32_e32 v6, vcc, v0, v7, vcc
	global_load_dword v5, v[5:6], off offset:64
.LBB36_11:                              ;   in Loop: Header=BB36_3 Depth=1
	s_or_b64 exec, exec, s[0:1]
	s_waitcnt vmcnt(0)
	v_and_b32_e32 v0, 0xffff, v2
	v_lshl_or_b32 v6, v3, 16, v0
	v_lshrrev_b32_e32 v0, 16, v2
	v_and_or_b32 v7, v3, s37, v0
	v_and_b32_e32 v0, 0xffff, v4
	s_mul_i32 s0, s33, s38
	v_lshl_or_b32 v8, v5, 16, v0
	v_add_u32_e32 v0, s0, v16
	v_mov_b32_e32 v9, s31
	v_mad_u64_u32 v[19:20], s[0:1], s5, v9, v[0:1]
	v_or_b32_e32 v10, s39, v12
	v_mov_b32_e32 v11, v1
	v_mad_u64_u32 v[21:22], s[0:1], v19, s4, v[10:11]
	v_lshrrev_b32_e32 v9, 16, v4
	v_and_or_b32 v9, v5, s37, v9
	ds_write_b128 v14, v[6:9]
	v_mov_b32_e32 v6, v22
	v_mad_u64_u32 v[6:7], s[0:1], v20, s4, v[6:7]
	s_waitcnt lgkmcnt(0)
	s_barrier
	v_mov_b32_e32 v22, v6
	ds_read_u16 v19, v15 offset:2
	ds_read_b64 v[6:7], v15 offset:6
	ds_read_u16 v11, v15 offset:14
	v_cmp_gt_u32_e32 vcc, s8, v10
	v_cmp_gt_u32_e64 s[2:3], s9, v0
	v_lshlrev_b64 v[8:9], 1, v[21:22]
	s_and_b64 s[0:1], vcc, s[2:3]
	s_and_saveexec_b64 s[26:27], s[0:1]
	s_cbranch_execz .LBB36_13
; %bb.12:                               ;   in Loop: Header=BB36_3 Depth=1
	ds_read_u16 v24, v15
	ds_read_u16 v25, v15 offset:4
	v_mov_b32_e32 v21, s17
	v_add_co_u32_e64 v20, s[0:1], s16, v8
	v_addc_co_u32_e64 v21, s[0:1], v21, v9, s[0:1]
	v_mov_b32_e32 v23, s21
	v_add_co_u32_e64 v22, s[0:1], s20, v20
	v_addc_co_u32_e64 v23, s[0:1], v21, v23, s[0:1]
	s_waitcnt lgkmcnt(1)
	global_store_short v[20:21], v24, off
	s_waitcnt lgkmcnt(0)
	global_store_short v[22:23], v25, off
.LBB36_13:                              ;   in Loop: Header=BB36_3 Depth=1
	s_or_b64 exec, exec, s[26:27]
	v_or_b32_e32 v10, 16, v10
	v_cmp_gt_u32_e64 s[0:1], s8, v10
	s_and_b64 s[2:3], s[0:1], s[2:3]
	s_and_saveexec_b64 s[26:27], s[2:3]
	s_cbranch_execz .LBB36_15
; %bb.14:                               ;   in Loop: Header=BB36_3 Depth=1
	v_mov_b32_e32 v10, s17
	v_add_co_u32_e64 v20, s[2:3], s16, v8
	v_addc_co_u32_e64 v21, s[2:3], v10, v9, s[2:3]
	v_mov_b32_e32 v10, s21
	v_add_co_u32_e64 v22, s[2:3], s20, v20
	v_addc_co_u32_e64 v23, s[2:3], v21, v10, s[2:3]
	s_waitcnt lgkmcnt(2)
	global_store_short v[20:21], v19, off offset:32
	s_waitcnt lgkmcnt(1)
	global_store_short v[22:23], v6, off offset:32
.LBB36_15:                              ;   in Loop: Header=BB36_3 Depth=1
	s_or_b64 exec, exec, s[26:27]
	v_add_u32_e32 v0, 32, v0
	v_cmp_gt_u32_e64 s[2:3], s9, v0
	s_and_b64 s[38:39], vcc, s[2:3]
	s_and_saveexec_b64 s[26:27], s[38:39]
	s_cbranch_execz .LBB36_17
; %bb.16:                               ;   in Loop: Header=BB36_3 Depth=1
	v_mov_b32_e32 v0, s17
	v_add_co_u32_e32 v10, vcc, s16, v8
	v_addc_co_u32_e32 v0, vcc, v0, v9, vcc
	v_mov_b32_e32 v20, s23
	s_waitcnt lgkmcnt(2)
	v_add_co_u32_e32 v19, vcc, s22, v10
	v_addc_co_u32_e32 v20, vcc, v0, v20, vcc
	v_mov_b32_e32 v22, s25
	v_add_co_u32_e32 v21, vcc, s24, v10
	v_addc_co_u32_e32 v22, vcc, v0, v22, vcc
	s_waitcnt lgkmcnt(1)
	global_store_short_d16_hi v[21:22], v6, off
	global_store_short_d16_hi v[19:20], v7, off
.LBB36_17:                              ;   in Loop: Header=BB36_3 Depth=1
	s_or_b64 exec, exec, s[26:27]
	s_and_b64 s[2:3], s[0:1], s[2:3]
	s_and_saveexec_b64 s[0:1], s[2:3]
	s_cbranch_execz .LBB36_2
; %bb.18:                               ;   in Loop: Header=BB36_3 Depth=1
	v_mov_b32_e32 v0, s17
	s_waitcnt lgkmcnt(1)
	v_add_co_u32_e32 v6, vcc, s16, v8
	v_addc_co_u32_e32 v0, vcc, v0, v9, vcc
	v_mov_b32_e32 v9, s23
	v_add_co_u32_e32 v8, vcc, s22, v6
	v_addc_co_u32_e32 v9, vcc, v0, v9, vcc
	v_mov_b32_e32 v10, s25
	v_add_co_u32_e32 v19, vcc, s24, v6
	v_addc_co_u32_e32 v20, vcc, v0, v10, vcc
	global_store_short v[19:20], v7, off offset:32
	s_waitcnt lgkmcnt(0)
	global_store_short v[8:9], v11, off offset:32
	s_branch .LBB36_2
.LBB36_19:
	s_endpgm
	.section	.rodata,"a",@progbits
	.p2align	6, 0x0
	.amdhsa_kernel batched_transpose_64x32_pack_4x2_ediv_2x1_half
		.amdhsa_group_segment_fixed_size 4352
		.amdhsa_private_segment_fixed_size 0
		.amdhsa_kernarg_size 48
		.amdhsa_user_sgpr_count 6
		.amdhsa_user_sgpr_private_segment_buffer 1
		.amdhsa_user_sgpr_dispatch_ptr 0
		.amdhsa_user_sgpr_queue_ptr 0
		.amdhsa_user_sgpr_kernarg_segment_ptr 1
		.amdhsa_user_sgpr_dispatch_id 0
		.amdhsa_user_sgpr_flat_scratch_init 0
		.amdhsa_user_sgpr_private_segment_size 0
		.amdhsa_uses_dynamic_stack 0
		.amdhsa_system_sgpr_private_segment_wavefront_offset 0
		.amdhsa_system_sgpr_workgroup_id_x 1
		.amdhsa_system_sgpr_workgroup_id_y 0
		.amdhsa_system_sgpr_workgroup_id_z 0
		.amdhsa_system_sgpr_workgroup_info 0
		.amdhsa_system_vgpr_workitem_id 0
		.amdhsa_next_free_vgpr 26
		.amdhsa_next_free_sgpr 42
		.amdhsa_reserve_vcc 1
		.amdhsa_reserve_flat_scratch 0
		.amdhsa_float_round_mode_32 0
		.amdhsa_float_round_mode_16_64 0
		.amdhsa_float_denorm_mode_32 3
		.amdhsa_float_denorm_mode_16_64 3
		.amdhsa_dx10_clamp 1
		.amdhsa_ieee_mode 1
		.amdhsa_fp16_overflow 0
		.amdhsa_exception_fp_ieee_invalid_op 0
		.amdhsa_exception_fp_denorm_src 0
		.amdhsa_exception_fp_ieee_div_zero 0
		.amdhsa_exception_fp_ieee_overflow 0
		.amdhsa_exception_fp_ieee_underflow 0
		.amdhsa_exception_fp_ieee_inexact 0
		.amdhsa_exception_int_div_zero 0
	.end_amdhsa_kernel
	.text
.Lfunc_end36:
	.size	batched_transpose_64x32_pack_4x2_ediv_2x1_half, .Lfunc_end36-batched_transpose_64x32_pack_4x2_ediv_2x1_half
                                        ; -- End function
	.set batched_transpose_64x32_pack_4x2_ediv_2x1_half.num_vgpr, 26
	.set batched_transpose_64x32_pack_4x2_ediv_2x1_half.num_agpr, 0
	.set batched_transpose_64x32_pack_4x2_ediv_2x1_half.numbered_sgpr, 42
	.set batched_transpose_64x32_pack_4x2_ediv_2x1_half.num_named_barrier, 0
	.set batched_transpose_64x32_pack_4x2_ediv_2x1_half.private_seg_size, 0
	.set batched_transpose_64x32_pack_4x2_ediv_2x1_half.uses_vcc, 1
	.set batched_transpose_64x32_pack_4x2_ediv_2x1_half.uses_flat_scratch, 0
	.set batched_transpose_64x32_pack_4x2_ediv_2x1_half.has_dyn_sized_stack, 0
	.set batched_transpose_64x32_pack_4x2_ediv_2x1_half.has_recursion, 0
	.set batched_transpose_64x32_pack_4x2_ediv_2x1_half.has_indirect_call, 0
	.section	.AMDGPU.csdata,"",@progbits
; Kernel info:
; codeLenInByte = 1104
; TotalNumSgprs: 46
; NumVgprs: 26
; ScratchSize: 0
; MemoryBound: 0
; FloatMode: 240
; IeeeMode: 1
; LDSByteSize: 4352 bytes/workgroup (compile time only)
; SGPRBlocks: 5
; VGPRBlocks: 6
; NumSGPRsForWavesPerEU: 46
; NumVGPRsForWavesPerEU: 26
; Occupancy: 9
; WaveLimiterHint : 0
; COMPUTE_PGM_RSRC2:SCRATCH_EN: 0
; COMPUTE_PGM_RSRC2:USER_SGPR: 6
; COMPUTE_PGM_RSRC2:TRAP_HANDLER: 0
; COMPUTE_PGM_RSRC2:TGID_X_EN: 1
; COMPUTE_PGM_RSRC2:TGID_Y_EN: 0
; COMPUTE_PGM_RSRC2:TGID_Z_EN: 0
; COMPUTE_PGM_RSRC2:TIDIG_COMP_CNT: 0
	.text
	.protected	batched_transpose_32x64_pack_2x4_ediv_2x4_half ; -- Begin function batched_transpose_32x64_pack_2x4_ediv_2x4_half
	.globl	batched_transpose_32x64_pack_2x4_ediv_2x4_half
	.p2align	8
	.type	batched_transpose_32x64_pack_2x4_ediv_2x4_half,@function
batched_transpose_32x64_pack_2x4_ediv_2x4_half: ; @batched_transpose_32x64_pack_2x4_ediv_2x4_half
; %bb.0:
	s_load_dwordx8 s[8:15], s[4:5], 0x10
	s_waitcnt lgkmcnt(0)
	s_cmp_ge_u32 s6, s11
	s_cbranch_scc1 .LBB37_7
; %bb.1:
	s_load_dwordx4 s[16:19], s[4:5], 0x0
	s_add_i32 s20, s9, 31
	v_and_b32_e32 v4, 15, v0
	s_lshr_b32 s4, s9, 1
	s_add_i32 s0, s8, 63
	s_mov_b32 s5, 0
	v_lshrrev_b32_e32 v1, 4, v0
	v_and_b32_e32 v0, 0xf0, v0
	s_movk_i32 s3, 0x110
	v_lshlrev_b32_e32 v2, 4, v4
	s_and_b32 s21, s20, 0xffffffe0
	s_lshr_b32 s20, s20, 1
	s_lshr_b32 s2, s8, 2
	s_lshr_b32 s7, s0, 6
	s_and_b32 s0, s9, -2
	s_mov_b32 s1, s5
	s_mul_i32 s24, s4, 3
	s_mov_b32 s25, s5
	v_mad_u32_u24 v6, v4, s3, v0
	v_lshlrev_b32_e32 v0, 1, v1
	v_mad_u32_u24 v7, v1, s3, v2
	s_mov_b32 s3, s5
	s_and_b32 s20, s20, 0x7ffffff0
	v_lshlrev_b32_e32 v5, 2, v1
	s_mov_b32 s28, s9
	s_sub_i32 s29, 0, s21
	v_lshl_or_b32 v8, s6, 5, v0
	s_lshl_b32 s30, s10, 5
	s_sub_i32 s31, 0, s20
	v_lshl_or_b32 v9, s6, 4, v4
	s_lshl_b32 s33, s10, 4
	v_mov_b32_e32 v1, 0
	s_lshl_b64 s[20:21], s[4:5], 2
	s_lshl_b64 s[22:23], s[0:1], 2
	;; [unrolled: 1-line block ×3, first 2 shown]
	s_mov_b32 s5, 0xffff0000
	s_lshl_b64 s[26:27], s[2:3], 3
	s_branch .LBB37_3
.LBB37_2:                               ;   in Loop: Header=BB37_3 Depth=1
	s_or_b64 exec, exec, s[0:1]
	s_add_i32 s6, s6, s10
	v_add_u32_e32 v8, s30, v8
	s_cmp_lt_u32 s6, s11
	v_add_u32_e32 v9, s33, v9
	s_cbranch_scc0 .LBB37_7
.LBB37_3:                               ; =>This Inner Loop Header: Depth=1
	s_mul_hi_u32 s0, s14, s6
	s_add_i32 s0, s6, s0
	s_lshr_b32 s34, s0, s15
	s_mul_hi_u32 s0, s34, s12
	s_add_i32 s0, s34, s0
	s_lshr_b32 s3, s0, s13
	s_mul_i32 s0, s3, s7
	s_sub_i32 s35, s34, s0
	s_mul_i32 s0, s31, s34
	v_add_u32_e32 v2, s0, v9
	v_lshl_or_b32 v0, s35, 6, v5
	v_cmp_gt_u32_e32 vcc, s8, v0
	v_cmp_gt_u32_e64 s[0:1], s4, v2
	s_and_b64 s[36:37], vcc, s[0:1]
	s_waitcnt vmcnt(0) lgkmcnt(0)
	s_barrier
	s_and_saveexec_b64 s[0:1], s[36:37]
	s_cbranch_execz .LBB37_5
; %bb.4:                                ;   in Loop: Header=BB37_3 Depth=1
	v_mov_b32_e32 v3, s8
	v_mad_u64_u32 v[10:11], s[36:37], s3, v3, v[0:1]
	v_mov_b32_e32 v3, v1
	v_lshlrev_b64 v[2:3], 2, v[2:3]
	v_mad_u64_u32 v[12:13], s[36:37], v10, s4, 0
	v_mov_b32_e32 v0, v13
	v_mad_u64_u32 v[10:11], s[36:37], v11, s4, v[0:1]
	v_mov_b32_e32 v0, s19
	v_mov_b32_e32 v13, v10
	v_lshlrev_b64 v[10:11], 2, v[12:13]
	v_add_co_u32_e32 v10, vcc, s18, v10
	v_addc_co_u32_e32 v0, vcc, v0, v11, vcc
	v_add_co_u32_e32 v2, vcc, v10, v2
	v_addc_co_u32_e32 v3, vcc, v0, v3, vcc
	v_mov_b32_e32 v0, s21
	v_add_co_u32_e32 v10, vcc, s20, v2
	v_addc_co_u32_e32 v11, vcc, v3, v0, vcc
	v_mov_b32_e32 v0, s23
	v_add_co_u32_e32 v12, vcc, s22, v2
	v_addc_co_u32_e32 v13, vcc, v3, v0, vcc
	global_load_dword v0, v[2:3], off
	global_load_dword v14, v[10:11], off
	;; [unrolled: 1-line block ×3, first 2 shown]
	v_mov_b32_e32 v10, s25
	v_add_co_u32_e32 v2, vcc, s24, v2
	v_addc_co_u32_e32 v3, vcc, v3, v10, vcc
	global_load_dword v2, v[2:3], off
	s_waitcnt vmcnt(3)
	v_and_b32_e32 v3, 0xffff, v0
	v_lshrrev_b32_e32 v0, 16, v0
	s_waitcnt vmcnt(2)
	v_lshl_or_b32 v10, v14, 16, v3
	v_and_or_b32 v12, v14, s5, v0
	s_waitcnt vmcnt(1)
	v_and_b32_e32 v0, 0xffff, v15
	v_lshrrev_b32_e32 v3, 16, v15
	s_waitcnt vmcnt(0)
	v_lshl_or_b32 v11, v2, 16, v0
	v_and_or_b32 v13, v2, s5, v3
	ds_write_b128 v6, v[10:13]
.LBB37_5:                               ;   in Loop: Header=BB37_3 Depth=1
	s_or_b64 exec, exec, s[0:1]
	s_mul_i32 s0, s29, s34
	v_lshl_or_b32 v2, s35, 4, v4
	v_add_u32_e32 v0, s0, v8
	v_cmp_gt_u32_e32 vcc, s2, v2
	v_cmp_gt_u32_e64 s[0:1], s9, v0
	s_and_b64 s[34:35], vcc, s[0:1]
	s_waitcnt lgkmcnt(0)
	s_barrier
	s_and_saveexec_b64 s[0:1], s[34:35]
	s_cbranch_execz .LBB37_2
; %bb.6:                                ;   in Loop: Header=BB37_3 Depth=1
	v_mov_b32_e32 v3, s28
	v_mad_u64_u32 v[13:14], s[34:35], s3, v3, v[0:1]
	v_mov_b32_e32 v3, v1
	v_lshlrev_b64 v[2:3], 3, v[2:3]
	v_mad_u64_u32 v[15:16], s[34:35], v13, s2, 0
	ds_read_b128 v[10:13], v7
	v_mov_b32_e32 v0, v16
	v_mad_u64_u32 v[16:17], s[34:35], v14, s2, v[0:1]
	v_mov_b32_e32 v0, s17
	v_lshlrev_b64 v[14:15], 3, v[15:16]
	v_add_co_u32_e32 v14, vcc, s16, v14
	v_addc_co_u32_e32 v0, vcc, v0, v15, vcc
	v_add_co_u32_e32 v2, vcc, v14, v2
	v_addc_co_u32_e32 v3, vcc, v0, v3, vcc
	s_waitcnt lgkmcnt(0)
	global_store_dwordx2 v[2:3], v[10:11], off
	v_mov_b32_e32 v0, s27
	v_add_co_u32_e32 v2, vcc, s26, v2
	v_addc_co_u32_e32 v3, vcc, v3, v0, vcc
	global_store_dwordx2 v[2:3], v[12:13], off
	s_branch .LBB37_2
.LBB37_7:
	s_endpgm
	.section	.rodata,"a",@progbits
	.p2align	6, 0x0
	.amdhsa_kernel batched_transpose_32x64_pack_2x4_ediv_2x4_half
		.amdhsa_group_segment_fixed_size 4352
		.amdhsa_private_segment_fixed_size 0
		.amdhsa_kernarg_size 48
		.amdhsa_user_sgpr_count 6
		.amdhsa_user_sgpr_private_segment_buffer 1
		.amdhsa_user_sgpr_dispatch_ptr 0
		.amdhsa_user_sgpr_queue_ptr 0
		.amdhsa_user_sgpr_kernarg_segment_ptr 1
		.amdhsa_user_sgpr_dispatch_id 0
		.amdhsa_user_sgpr_flat_scratch_init 0
		.amdhsa_user_sgpr_private_segment_size 0
		.amdhsa_uses_dynamic_stack 0
		.amdhsa_system_sgpr_private_segment_wavefront_offset 0
		.amdhsa_system_sgpr_workgroup_id_x 1
		.amdhsa_system_sgpr_workgroup_id_y 0
		.amdhsa_system_sgpr_workgroup_id_z 0
		.amdhsa_system_sgpr_workgroup_info 0
		.amdhsa_system_vgpr_workitem_id 0
		.amdhsa_next_free_vgpr 18
		.amdhsa_next_free_sgpr 38
		.amdhsa_reserve_vcc 1
		.amdhsa_reserve_flat_scratch 0
		.amdhsa_float_round_mode_32 0
		.amdhsa_float_round_mode_16_64 0
		.amdhsa_float_denorm_mode_32 3
		.amdhsa_float_denorm_mode_16_64 3
		.amdhsa_dx10_clamp 1
		.amdhsa_ieee_mode 1
		.amdhsa_fp16_overflow 0
		.amdhsa_exception_fp_ieee_invalid_op 0
		.amdhsa_exception_fp_denorm_src 0
		.amdhsa_exception_fp_ieee_div_zero 0
		.amdhsa_exception_fp_ieee_overflow 0
		.amdhsa_exception_fp_ieee_underflow 0
		.amdhsa_exception_fp_ieee_inexact 0
		.amdhsa_exception_int_div_zero 0
	.end_amdhsa_kernel
	.text
.Lfunc_end37:
	.size	batched_transpose_32x64_pack_2x4_ediv_2x4_half, .Lfunc_end37-batched_transpose_32x64_pack_2x4_ediv_2x4_half
                                        ; -- End function
	.set batched_transpose_32x64_pack_2x4_ediv_2x4_half.num_vgpr, 18
	.set batched_transpose_32x64_pack_2x4_ediv_2x4_half.num_agpr, 0
	.set batched_transpose_32x64_pack_2x4_ediv_2x4_half.numbered_sgpr, 38
	.set batched_transpose_32x64_pack_2x4_ediv_2x4_half.num_named_barrier, 0
	.set batched_transpose_32x64_pack_2x4_ediv_2x4_half.private_seg_size, 0
	.set batched_transpose_32x64_pack_2x4_ediv_2x4_half.uses_vcc, 1
	.set batched_transpose_32x64_pack_2x4_ediv_2x4_half.uses_flat_scratch, 0
	.set batched_transpose_32x64_pack_2x4_ediv_2x4_half.has_dyn_sized_stack, 0
	.set batched_transpose_32x64_pack_2x4_ediv_2x4_half.has_recursion, 0
	.set batched_transpose_32x64_pack_2x4_ediv_2x4_half.has_indirect_call, 0
	.section	.AMDGPU.csdata,"",@progbits
; Kernel info:
; codeLenInByte = 708
; TotalNumSgprs: 42
; NumVgprs: 18
; ScratchSize: 0
; MemoryBound: 0
; FloatMode: 240
; IeeeMode: 1
; LDSByteSize: 4352 bytes/workgroup (compile time only)
; SGPRBlocks: 5
; VGPRBlocks: 4
; NumSGPRsForWavesPerEU: 42
; NumVGPRsForWavesPerEU: 18
; Occupancy: 10
; WaveLimiterHint : 0
; COMPUTE_PGM_RSRC2:SCRATCH_EN: 0
; COMPUTE_PGM_RSRC2:USER_SGPR: 6
; COMPUTE_PGM_RSRC2:TRAP_HANDLER: 0
; COMPUTE_PGM_RSRC2:TGID_X_EN: 1
; COMPUTE_PGM_RSRC2:TGID_Y_EN: 0
; COMPUTE_PGM_RSRC2:TGID_Z_EN: 0
; COMPUTE_PGM_RSRC2:TIDIG_COMP_CNT: 0
	.text
	.protected	batched_transpose_32x64_pack_2x4_ediv_2x2_half ; -- Begin function batched_transpose_32x64_pack_2x4_ediv_2x2_half
	.globl	batched_transpose_32x64_pack_2x4_ediv_2x2_half
	.p2align	8
	.type	batched_transpose_32x64_pack_2x4_ediv_2x2_half,@function
batched_transpose_32x64_pack_2x4_ediv_2x2_half: ; @batched_transpose_32x64_pack_2x4_ediv_2x2_half
; %bb.0:
	s_load_dwordx8 s[8:15], s[4:5], 0x10
	s_waitcnt lgkmcnt(0)
	s_cmp_ge_u32 s6, s11
	s_cbranch_scc1 .LBB38_11
; %bb.1:
	v_and_b32_e32 v11, 15, v0
	v_lshrrev_b32_e32 v1, 4, v0
	v_and_b32_e32 v0, 0xf0, v0
	s_movk_i32 s21, 0x110
	s_load_dwordx4 s[16:19], s[4:5], 0x0
	v_mad_u32_u24 v13, v11, s21, v0
	v_lshlrev_b32_e32 v0, 4, v11
	s_add_i32 s20, s9, 31
	v_lshlrev_b32_e32 v12, 1, v1
	v_mad_u32_u24 v14, v1, s21, v0
	v_mov_b32_e32 v1, 0
	s_lshr_b32 s4, s9, 1
	s_add_i32 s0, s8, 63
	s_mov_b32 s5, 0
	s_and_b32 s21, s20, 0xffffffe0
	s_lshr_b32 s20, s20, 1
	v_mov_b32_e32 v2, v1
	v_mov_b32_e32 v3, v1
	s_lshr_b32 s2, s8, 1
	s_lshr_b32 s7, s0, 6
	s_lshl_b32 s0, s4, 5
	s_mov_b32 s1, s5
	s_mul_i32 s22, s4, 33
	s_mov_b32 s23, s5
	s_mov_b32 s3, s5
	s_and_b32 s20, s20, 0x7ffffff0
	v_mov_b32_e32 v0, v1
	v_mov_b32_e32 v5, v3
	s_sub_i32 s30, 0, s21
	v_lshl_or_b32 v15, s6, 5, v12
	s_lshl_b32 s31, s10, 5
	s_sub_i32 s33, 0, s20
	v_lshl_or_b32 v16, s6, 4, v11
	s_lshl_b32 s34, s10, 4
	v_mov_b32_e32 v17, s8
	s_lshl_b64 s[20:21], s[4:5], 2
	s_lshl_b64 s[22:23], s[22:23], 2
	;; [unrolled: 1-line block ×3, first 2 shown]
	s_mov_b32 s5, 0xffff0000
	v_mov_b32_e32 v18, s9
	s_lshl_b64 s[26:27], s[2:3], 2
	v_mov_b32_e32 v4, v2
	v_mov_b32_e32 v3, v1
	;; [unrolled: 1-line block ×3, first 2 shown]
	s_branch .LBB38_3
.LBB38_2:                               ;   in Loop: Header=BB38_3 Depth=1
	s_or_b64 exec, exec, s[0:1]
	s_add_i32 s6, s6, s10
	v_add_u32_e32 v15, s31, v15
	s_cmp_lt_u32 s6, s11
	v_add_u32_e32 v16, s34, v16
	s_cbranch_scc0 .LBB38_11
.LBB38_3:                               ; =>This Inner Loop Header: Depth=1
	s_mul_hi_u32 s0, s14, s6
	s_add_i32 s0, s6, s0
	s_lshr_b32 s36, s0, s15
	s_mul_hi_u32 s0, s36, s12
	s_add_i32 s0, s36, s0
	s_lshr_b32 s3, s0, s13
	s_mul_i32 s0, s3, s7
	s_sub_i32 s35, s36, s0
	v_lshl_or_b32 v0, s35, 6, v12
	s_waitcnt lgkmcnt(0)
	v_mad_u64_u32 v[6:7], s[0:1], s3, v17, v[0:1]
	s_mul_i32 s28, s33, s36
	v_add_u32_e32 v8, s28, v16
	v_mov_b32_e32 v9, v1
	v_mad_u64_u32 v[9:10], s[0:1], v6, s4, v[8:9]
	v_cmp_gt_u32_e32 vcc, s4, v8
	s_waitcnt lgkmcnt(0)
	v_mov_b32_e32 v6, v10
	v_mad_u64_u32 v[6:7], s[0:1], v7, s4, v[6:7]
	v_cmp_gt_u32_e64 s[0:1], s8, v0
	s_and_b64 s[0:1], s[0:1], vcc
	v_mov_b32_e32 v10, v6
	v_lshlrev_b64 v[6:7], 2, v[9:10]
	s_waitcnt vmcnt(0)
	s_barrier
	s_and_saveexec_b64 s[28:29], s[0:1]
	s_cbranch_execz .LBB38_5
; %bb.4:                                ;   in Loop: Header=BB38_3 Depth=1
	v_mov_b32_e32 v2, s19
	v_add_co_u32_e64 v8, s[0:1], s18, v6
	v_addc_co_u32_e64 v9, s[0:1], v2, v7, s[0:1]
	v_mov_b32_e32 v2, s21
	v_add_co_u32_e64 v19, s[0:1], s20, v8
	v_addc_co_u32_e64 v20, s[0:1], v9, v2, s[0:1]
	global_load_dword v2, v[8:9], off
	global_load_dword v3, v[19:20], off
.LBB38_5:                               ;   in Loop: Header=BB38_3 Depth=1
	s_or_b64 exec, exec, s[28:29]
	v_add_u32_e32 v0, 32, v0
	v_cmp_gt_u32_e64 s[0:1], s8, v0
	s_and_b64 s[28:29], s[0:1], vcc
	s_and_saveexec_b64 s[0:1], s[28:29]
	s_cbranch_execz .LBB38_7
; %bb.6:                                ;   in Loop: Header=BB38_3 Depth=1
	v_mov_b32_e32 v0, s19
	v_add_co_u32_e32 v4, vcc, s18, v6
	v_addc_co_u32_e32 v0, vcc, v0, v7, vcc
	v_mov_b32_e32 v5, s23
	v_add_co_u32_e32 v6, vcc, s22, v4
	v_addc_co_u32_e32 v7, vcc, v0, v5, vcc
	;; [unrolled: 3-line block ×3, first 2 shown]
	global_load_dword v4, v[8:9], off
	global_load_dword v5, v[6:7], off
.LBB38_7:                               ;   in Loop: Header=BB38_3 Depth=1
	s_or_b64 exec, exec, s[0:1]
	s_waitcnt vmcnt(1)
	v_and_b32_e32 v0, 0xffff, v2
	s_waitcnt vmcnt(0)
	v_lshl_or_b32 v6, v3, 16, v0
	v_lshrrev_b32_e32 v0, 16, v2
	v_and_or_b32 v8, v3, s5, v0
	v_and_b32_e32 v0, 0xffff, v4
	v_lshl_or_b32 v7, v5, 16, v0
	v_lshrrev_b32_e32 v0, 16, v4
	s_mul_i32 s0, s30, s36
	v_and_or_b32 v9, v5, s5, v0
	v_add_u32_e32 v0, s0, v15
	ds_write_b128 v13, v[6:9]
	v_mad_u64_u32 v[6:7], s[0:1], s3, v18, v[0:1]
	v_lshl_or_b32 v8, s35, 5, v11
	v_mov_b32_e32 v9, v1
	v_mad_u64_u32 v[9:10], s[0:1], v6, s2, v[8:9]
	s_waitcnt lgkmcnt(0)
	s_barrier
	v_mov_b32_e32 v6, v10
	v_mad_u64_u32 v[6:7], s[0:1], v7, s2, v[6:7]
	v_cmp_gt_u32_e64 s[0:1], s2, v8
	v_mov_b32_e32 v10, v6
	ds_read2_b32 v[6:7], v14 offset0:1 offset1:3
	v_cmp_gt_u32_e32 vcc, s9, v0
	v_lshlrev_b64 v[9:10], 2, v[9:10]
	s_and_b64 s[0:1], s[0:1], vcc
	s_and_saveexec_b64 s[28:29], s[0:1]
	s_cbranch_execz .LBB38_9
; %bb.8:                                ;   in Loop: Header=BB38_3 Depth=1
	ds_read2_b32 v[23:24], v14 offset1:2
	v_add_co_u32_e64 v19, s[0:1], s16, v9
	v_mov_b32_e32 v0, s17
	v_addc_co_u32_e64 v20, s[0:1], v0, v10, s[0:1]
	v_add_co_u32_e64 v21, s[0:1], s26, v19
	v_mov_b32_e32 v0, s27
	v_addc_co_u32_e64 v22, s[0:1], v20, v0, s[0:1]
	s_waitcnt lgkmcnt(0)
	global_store_dword v[19:20], v23, off
	global_store_dword v[21:22], v24, off
.LBB38_9:                               ;   in Loop: Header=BB38_3 Depth=1
	s_or_b64 exec, exec, s[28:29]
	v_or_b32_e32 v0, 16, v8
	v_cmp_gt_u32_e64 s[0:1], s2, v0
	s_and_b64 s[28:29], s[0:1], vcc
	s_and_saveexec_b64 s[0:1], s[28:29]
	s_cbranch_execz .LBB38_2
; %bb.10:                               ;   in Loop: Header=BB38_3 Depth=1
	v_mov_b32_e32 v0, s17
	v_add_co_u32_e32 v8, vcc, s16, v9
	v_addc_co_u32_e32 v9, vcc, v0, v10, vcc
	v_mov_b32_e32 v0, s27
	v_add_co_u32_e32 v19, vcc, s26, v8
	v_addc_co_u32_e32 v20, vcc, v9, v0, vcc
	s_waitcnt lgkmcnt(0)
	global_store_dword v[8:9], v6, off offset:64
	global_store_dword v[19:20], v7, off offset:64
	s_branch .LBB38_2
.LBB38_11:
	s_endpgm
	.section	.rodata,"a",@progbits
	.p2align	6, 0x0
	.amdhsa_kernel batched_transpose_32x64_pack_2x4_ediv_2x2_half
		.amdhsa_group_segment_fixed_size 4352
		.amdhsa_private_segment_fixed_size 0
		.amdhsa_kernarg_size 48
		.amdhsa_user_sgpr_count 6
		.amdhsa_user_sgpr_private_segment_buffer 1
		.amdhsa_user_sgpr_dispatch_ptr 0
		.amdhsa_user_sgpr_queue_ptr 0
		.amdhsa_user_sgpr_kernarg_segment_ptr 1
		.amdhsa_user_sgpr_dispatch_id 0
		.amdhsa_user_sgpr_flat_scratch_init 0
		.amdhsa_user_sgpr_private_segment_size 0
		.amdhsa_uses_dynamic_stack 0
		.amdhsa_system_sgpr_private_segment_wavefront_offset 0
		.amdhsa_system_sgpr_workgroup_id_x 1
		.amdhsa_system_sgpr_workgroup_id_y 0
		.amdhsa_system_sgpr_workgroup_id_z 0
		.amdhsa_system_sgpr_workgroup_info 0
		.amdhsa_system_vgpr_workitem_id 0
		.amdhsa_next_free_vgpr 25
		.amdhsa_next_free_sgpr 37
		.amdhsa_reserve_vcc 1
		.amdhsa_reserve_flat_scratch 0
		.amdhsa_float_round_mode_32 0
		.amdhsa_float_round_mode_16_64 0
		.amdhsa_float_denorm_mode_32 3
		.amdhsa_float_denorm_mode_16_64 3
		.amdhsa_dx10_clamp 1
		.amdhsa_ieee_mode 1
		.amdhsa_fp16_overflow 0
		.amdhsa_exception_fp_ieee_invalid_op 0
		.amdhsa_exception_fp_denorm_src 0
		.amdhsa_exception_fp_ieee_div_zero 0
		.amdhsa_exception_fp_ieee_overflow 0
		.amdhsa_exception_fp_ieee_underflow 0
		.amdhsa_exception_fp_ieee_inexact 0
		.amdhsa_exception_int_div_zero 0
	.end_amdhsa_kernel
	.text
.Lfunc_end38:
	.size	batched_transpose_32x64_pack_2x4_ediv_2x2_half, .Lfunc_end38-batched_transpose_32x64_pack_2x4_ediv_2x2_half
                                        ; -- End function
	.set batched_transpose_32x64_pack_2x4_ediv_2x2_half.num_vgpr, 25
	.set batched_transpose_32x64_pack_2x4_ediv_2x2_half.num_agpr, 0
	.set batched_transpose_32x64_pack_2x4_ediv_2x2_half.numbered_sgpr, 37
	.set batched_transpose_32x64_pack_2x4_ediv_2x2_half.num_named_barrier, 0
	.set batched_transpose_32x64_pack_2x4_ediv_2x2_half.private_seg_size, 0
	.set batched_transpose_32x64_pack_2x4_ediv_2x2_half.uses_vcc, 1
	.set batched_transpose_32x64_pack_2x4_ediv_2x2_half.uses_flat_scratch, 0
	.set batched_transpose_32x64_pack_2x4_ediv_2x2_half.has_dyn_sized_stack, 0
	.set batched_transpose_32x64_pack_2x4_ediv_2x2_half.has_recursion, 0
	.set batched_transpose_32x64_pack_2x4_ediv_2x2_half.has_indirect_call, 0
	.section	.AMDGPU.csdata,"",@progbits
; Kernel info:
; codeLenInByte = 852
; TotalNumSgprs: 41
; NumVgprs: 25
; ScratchSize: 0
; MemoryBound: 0
; FloatMode: 240
; IeeeMode: 1
; LDSByteSize: 4352 bytes/workgroup (compile time only)
; SGPRBlocks: 5
; VGPRBlocks: 6
; NumSGPRsForWavesPerEU: 41
; NumVGPRsForWavesPerEU: 25
; Occupancy: 9
; WaveLimiterHint : 0
; COMPUTE_PGM_RSRC2:SCRATCH_EN: 0
; COMPUTE_PGM_RSRC2:USER_SGPR: 6
; COMPUTE_PGM_RSRC2:TRAP_HANDLER: 0
; COMPUTE_PGM_RSRC2:TGID_X_EN: 1
; COMPUTE_PGM_RSRC2:TGID_Y_EN: 0
; COMPUTE_PGM_RSRC2:TGID_Z_EN: 0
; COMPUTE_PGM_RSRC2:TIDIG_COMP_CNT: 0
	.text
	.protected	batched_transpose_32x64_pack_2x4_ediv_1x2_half ; -- Begin function batched_transpose_32x64_pack_2x4_ediv_1x2_half
	.globl	batched_transpose_32x64_pack_2x4_ediv_1x2_half
	.p2align	8
	.type	batched_transpose_32x64_pack_2x4_ediv_1x2_half,@function
batched_transpose_32x64_pack_2x4_ediv_1x2_half: ; @batched_transpose_32x64_pack_2x4_ediv_1x2_half
; %bb.0:
	s_load_dwordx8 s[8:15], s[4:5], 0x10
	s_waitcnt lgkmcnt(0)
	s_cmp_ge_u32 s6, s11
	s_cbranch_scc1 .LBB39_19
; %bb.1:
	s_load_dwordx4 s[16:19], s[4:5], 0x0
	v_and_b32_e32 v12, 15, v0
	v_lshrrev_b32_e32 v13, 4, v0
	v_and_b32_e32 v0, 0xf0, v0
	s_movk_i32 s20, 0x110
	s_lshr_b32 s7, s8, 1
	s_mov_b32 s5, 0
	v_mad_u32_u24 v15, v12, s20, v0
	v_lshlrev_b32_e32 v0, 4, v12
	s_add_i32 s0, s8, 63
	v_mad_u32_u24 v16, v13, s20, v0
	s_lshl_b32 s20, s7, 4
	s_mov_b32 s21, s5
	s_lshr_b32 s28, s0, 6
	s_add_i32 s22, s9, 31
	s_lshl_b32 s0, s9, 5
	s_lshl_b64 s[20:21], s[20:21], 2
	v_mov_b32_e32 v1, 0
	s_waitcnt lgkmcnt(0)
	s_add_u32 s29, s16, s20
	v_mov_b32_e32 v2, v1
	v_mov_b32_e32 v3, v1
	s_mov_b32 s4, s9
	s_mov_b32 s1, s5
	s_mul_i32 s2, s9, 33
	s_mov_b32 s3, s5
	s_addc_u32 s30, s17, s21
	s_andn2_b32 s22, s22, 31
	v_mov_b32_e32 v0, v1
	v_mov_b32_e32 v5, v3
	v_lshlrev_b32_e32 v14, 1, v13
	s_sub_i32 s31, 0, s22
	s_lshl_b32 s33, s6, 5
	s_lshl_b32 s34, s10, 5
	v_mov_b32_e32 v17, s8
	s_lshl_b64 s[20:21], s[4:5], 1
	s_mov_b32 s5, 0xffff
	s_mov_b32 s35, 0x5040100
	s_lshl_b64 s[22:23], s[2:3], 1
	s_lshl_b64 s[24:25], s[0:1], 1
	s_mov_b32 s36, 0x1000504
	s_mov_b32 s37, 0x3020706
	v_mov_b32_e32 v4, v2
	v_mov_b32_e32 v3, v1
	;; [unrolled: 1-line block ×3, first 2 shown]
	s_branch .LBB39_3
.LBB39_2:                               ;   in Loop: Header=BB39_3 Depth=1
	s_or_b64 exec, exec, s[0:1]
	s_add_i32 s6, s6, s10
	s_add_i32 s33, s33, s34
	s_cmp_lt_u32 s6, s11
	s_cbranch_scc0 .LBB39_19
.LBB39_3:                               ; =>This Inner Loop Header: Depth=1
	s_mul_hi_u32 s0, s14, s6
	s_add_i32 s0, s6, s0
	s_lshr_b32 s0, s0, s15
	s_mul_hi_u32 s1, s0, s12
	s_add_i32 s1, s0, s1
	s_lshr_b32 s38, s1, s13
	s_mul_i32 s1, s38, s28
	s_sub_i32 s39, s0, s1
	v_lshl_or_b32 v0, s39, 6, v14
	s_mul_i32 s40, s31, s0
	v_mad_u64_u32 v[6:7], s[0:1], s38, v17, v[0:1]
	s_add_i32 s40, s40, s33
	s_waitcnt lgkmcnt(1)
	v_add_u32_e32 v8, s40, v12
	v_mov_b32_e32 v9, v1
	v_mad_u64_u32 v[9:10], s[0:1], v6, s4, v[8:9]
	v_cmp_gt_u32_e64 s[2:3], s8, v0
	v_cmp_gt_u32_e32 vcc, s9, v8
	v_mov_b32_e32 v6, v10
	v_mad_u64_u32 v[6:7], s[0:1], v7, s4, v[6:7]
	s_and_b64 s[0:1], s[2:3], vcc
	v_mov_b32_e32 v10, v6
	v_lshlrev_b64 v[6:7], 1, v[9:10]
	s_waitcnt vmcnt(0) lgkmcnt(0)
	s_barrier
	s_and_saveexec_b64 s[26:27], s[0:1]
	s_cbranch_execz .LBB39_5
; %bb.4:                                ;   in Loop: Header=BB39_3 Depth=1
	v_mov_b32_e32 v10, s19
	v_add_co_u32_e64 v9, s[0:1], s18, v6
	v_addc_co_u32_e64 v10, s[0:1], v10, v7, s[0:1]
	v_mov_b32_e32 v11, s21
	v_add_co_u32_e64 v18, s[0:1], s20, v9
	v_addc_co_u32_e64 v19, s[0:1], v10, v11, s[0:1]
	global_load_ushort v11, v[9:10], off
	global_load_ushort v20, v[18:19], off
	s_waitcnt vmcnt(1)
	v_bfi_b32 v2, s5, v11, v2
	s_waitcnt vmcnt(0)
	v_bfi_b32 v3, s5, v20, v3
.LBB39_5:                               ;   in Loop: Header=BB39_3 Depth=1
	s_or_b64 exec, exec, s[26:27]
	v_add_u32_e32 v8, 16, v8
	v_cmp_gt_u32_e64 s[0:1], s9, v8
	s_and_b64 s[2:3], s[2:3], s[0:1]
	s_and_saveexec_b64 s[26:27], s[2:3]
	s_cbranch_execz .LBB39_7
; %bb.6:                                ;   in Loop: Header=BB39_3 Depth=1
	v_mov_b32_e32 v9, s19
	v_add_co_u32_e64 v8, s[2:3], s18, v6
	v_addc_co_u32_e64 v9, s[2:3], v9, v7, s[2:3]
	v_mov_b32_e32 v11, s21
	v_add_co_u32_e64 v10, s[2:3], s20, v8
	v_addc_co_u32_e64 v11, s[2:3], v9, v11, s[2:3]
	global_load_ushort v18, v[8:9], off offset:32
	global_load_ushort v19, v[10:11], off offset:32
	s_waitcnt vmcnt(1)
	v_perm_b32 v2, v18, v2, s35
	s_waitcnt vmcnt(0)
	v_perm_b32 v3, v19, v3, s35
.LBB39_7:                               ;   in Loop: Header=BB39_3 Depth=1
	s_or_b64 exec, exec, s[26:27]
	v_add_u32_e32 v0, 32, v0
	v_cmp_gt_u32_e64 s[2:3], s8, v0
	s_and_b64 s[42:43], s[2:3], vcc
	s_and_saveexec_b64 s[26:27], s[42:43]
	s_cbranch_execz .LBB39_9
; %bb.8:                                ;   in Loop: Header=BB39_3 Depth=1
	v_mov_b32_e32 v0, s19
	v_add_co_u32_e32 v10, vcc, s18, v6
	v_addc_co_u32_e32 v0, vcc, v0, v7, vcc
	v_mov_b32_e32 v9, s23
	v_add_co_u32_e32 v8, vcc, s22, v10
	v_addc_co_u32_e32 v9, vcc, v0, v9, vcc
	v_mov_b32_e32 v11, s25
	v_add_co_u32_e32 v10, vcc, s24, v10
	v_addc_co_u32_e32 v11, vcc, v0, v11, vcc
	global_load_ushort v0, v[10:11], off
	global_load_ushort v18, v[8:9], off
	s_waitcnt vmcnt(1)
	v_bfi_b32 v4, s5, v0, v4
	s_waitcnt vmcnt(0)
	v_bfi_b32 v5, s5, v18, v5
.LBB39_9:                               ;   in Loop: Header=BB39_3 Depth=1
	s_or_b64 exec, exec, s[26:27]
	s_and_b64 s[2:3], s[2:3], s[0:1]
	s_and_saveexec_b64 s[0:1], s[2:3]
	s_cbranch_execz .LBB39_11
; %bb.10:                               ;   in Loop: Header=BB39_3 Depth=1
	v_mov_b32_e32 v0, s19
	v_add_co_u32_e32 v8, vcc, s18, v6
	v_addc_co_u32_e32 v0, vcc, v0, v7, vcc
	v_mov_b32_e32 v7, s23
	v_add_co_u32_e32 v6, vcc, s22, v8
	v_addc_co_u32_e32 v7, vcc, v0, v7, vcc
	;; [unrolled: 3-line block ×3, first 2 shown]
	global_load_ushort v0, v[8:9], off offset:32
	global_load_ushort v10, v[6:7], off offset:32
	s_waitcnt vmcnt(1)
	v_perm_b32 v4, v0, v4, s35
	s_waitcnt vmcnt(0)
	v_perm_b32 v5, v10, v5, s35
.LBB39_11:                              ;   in Loop: Header=BB39_3 Depth=1
	s_or_b64 exec, exec, s[0:1]
	v_perm_b32 v6, v2, v3, s36
	v_perm_b32 v8, v2, v3, s37
	;; [unrolled: 1-line block ×4, first 2 shown]
	ds_write_b128 v15, v[6:9]
	v_add_u32_e32 v0, s40, v13
	v_mov_b32_e32 v6, s4
	v_mad_u64_u32 v[6:7], s[0:1], s38, v6, v[0:1]
	v_lshl_or_b32 v10, s39, 5, v12
	v_mov_b32_e32 v11, v1
	v_mad_u64_u32 v[18:19], s[0:1], v6, s7, v[10:11]
	s_waitcnt lgkmcnt(0)
	s_barrier
	v_mov_b32_e32 v6, v19
	v_mad_u64_u32 v[6:7], s[0:1], v7, s7, v[6:7]
	ds_read2_b32 v[8:9], v16 offset0:1 offset1:2
	ds_read_b32 v11, v16 offset:12
	v_mov_b32_e32 v19, v6
	v_cmp_gt_u32_e32 vcc, s7, v10
	v_cmp_gt_u32_e64 s[2:3], s9, v0
	v_lshlrev_b64 v[6:7], 2, v[18:19]
	s_and_b64 s[0:1], s[2:3], vcc
	s_and_saveexec_b64 s[26:27], s[0:1]
	s_cbranch_execz .LBB39_13
; %bb.12:                               ;   in Loop: Header=BB39_3 Depth=1
	ds_read_b32 v20, v16
	v_mov_b32_e32 v19, s17
	v_add_co_u32_e64 v18, s[0:1], s16, v6
	v_addc_co_u32_e64 v19, s[0:1], v19, v7, s[0:1]
	s_waitcnt lgkmcnt(0)
	global_store_dword v[18:19], v20, off
.LBB39_13:                              ;   in Loop: Header=BB39_3 Depth=1
	s_or_b64 exec, exec, s[26:27]
	v_or_b32_e32 v10, 16, v10
	v_cmp_gt_u32_e64 s[0:1], s7, v10
	s_and_b64 s[2:3], s[2:3], s[0:1]
	s_and_saveexec_b64 s[26:27], s[2:3]
	s_cbranch_execz .LBB39_15
; %bb.14:                               ;   in Loop: Header=BB39_3 Depth=1
	v_mov_b32_e32 v10, s17
	v_add_co_u32_e64 v18, s[2:3], s16, v6
	v_addc_co_u32_e64 v19, s[2:3], v10, v7, s[2:3]
	s_waitcnt lgkmcnt(1)
	global_store_dword v[18:19], v8, off offset:64
.LBB39_15:                              ;   in Loop: Header=BB39_3 Depth=1
	s_or_b64 exec, exec, s[26:27]
	v_add_u32_e32 v0, 16, v0
	v_cmp_gt_u32_e64 s[2:3], s9, v0
	s_and_b64 s[38:39], s[2:3], vcc
	s_and_saveexec_b64 s[26:27], s[38:39]
	s_cbranch_execz .LBB39_17
; %bb.16:                               ;   in Loop: Header=BB39_3 Depth=1
	v_mov_b32_e32 v0, s30
	v_add_co_u32_e32 v18, vcc, s29, v6
	v_addc_co_u32_e32 v19, vcc, v0, v7, vcc
	s_waitcnt lgkmcnt(1)
	global_store_dword v[18:19], v9, off
.LBB39_17:                              ;   in Loop: Header=BB39_3 Depth=1
	s_or_b64 exec, exec, s[26:27]
	s_and_b64 s[2:3], s[2:3], s[0:1]
	s_and_saveexec_b64 s[0:1], s[2:3]
	s_cbranch_execz .LBB39_2
; %bb.18:                               ;   in Loop: Header=BB39_3 Depth=1
	v_mov_b32_e32 v0, s30
	v_add_co_u32_e32 v6, vcc, s29, v6
	v_addc_co_u32_e32 v7, vcc, v0, v7, vcc
	s_waitcnt lgkmcnt(0)
	global_store_dword v[6:7], v11, off offset:64
	s_branch .LBB39_2
.LBB39_19:
	s_endpgm
	.section	.rodata,"a",@progbits
	.p2align	6, 0x0
	.amdhsa_kernel batched_transpose_32x64_pack_2x4_ediv_1x2_half
		.amdhsa_group_segment_fixed_size 4352
		.amdhsa_private_segment_fixed_size 0
		.amdhsa_kernarg_size 48
		.amdhsa_user_sgpr_count 6
		.amdhsa_user_sgpr_private_segment_buffer 1
		.amdhsa_user_sgpr_dispatch_ptr 0
		.amdhsa_user_sgpr_queue_ptr 0
		.amdhsa_user_sgpr_kernarg_segment_ptr 1
		.amdhsa_user_sgpr_dispatch_id 0
		.amdhsa_user_sgpr_flat_scratch_init 0
		.amdhsa_user_sgpr_private_segment_size 0
		.amdhsa_uses_dynamic_stack 0
		.amdhsa_system_sgpr_private_segment_wavefront_offset 0
		.amdhsa_system_sgpr_workgroup_id_x 1
		.amdhsa_system_sgpr_workgroup_id_y 0
		.amdhsa_system_sgpr_workgroup_id_z 0
		.amdhsa_system_sgpr_workgroup_info 0
		.amdhsa_system_vgpr_workitem_id 0
		.amdhsa_next_free_vgpr 21
		.amdhsa_next_free_sgpr 44
		.amdhsa_reserve_vcc 1
		.amdhsa_reserve_flat_scratch 0
		.amdhsa_float_round_mode_32 0
		.amdhsa_float_round_mode_16_64 0
		.amdhsa_float_denorm_mode_32 3
		.amdhsa_float_denorm_mode_16_64 3
		.amdhsa_dx10_clamp 1
		.amdhsa_ieee_mode 1
		.amdhsa_fp16_overflow 0
		.amdhsa_exception_fp_ieee_invalid_op 0
		.amdhsa_exception_fp_denorm_src 0
		.amdhsa_exception_fp_ieee_div_zero 0
		.amdhsa_exception_fp_ieee_overflow 0
		.amdhsa_exception_fp_ieee_underflow 0
		.amdhsa_exception_fp_ieee_inexact 0
		.amdhsa_exception_int_div_zero 0
	.end_amdhsa_kernel
	.text
.Lfunc_end39:
	.size	batched_transpose_32x64_pack_2x4_ediv_1x2_half, .Lfunc_end39-batched_transpose_32x64_pack_2x4_ediv_1x2_half
                                        ; -- End function
	.set batched_transpose_32x64_pack_2x4_ediv_1x2_half.num_vgpr, 21
	.set batched_transpose_32x64_pack_2x4_ediv_1x2_half.num_agpr, 0
	.set batched_transpose_32x64_pack_2x4_ediv_1x2_half.numbered_sgpr, 44
	.set batched_transpose_32x64_pack_2x4_ediv_1x2_half.num_named_barrier, 0
	.set batched_transpose_32x64_pack_2x4_ediv_1x2_half.private_seg_size, 0
	.set batched_transpose_32x64_pack_2x4_ediv_1x2_half.uses_vcc, 1
	.set batched_transpose_32x64_pack_2x4_ediv_1x2_half.uses_flat_scratch, 0
	.set batched_transpose_32x64_pack_2x4_ediv_1x2_half.has_dyn_sized_stack, 0
	.set batched_transpose_32x64_pack_2x4_ediv_1x2_half.has_recursion, 0
	.set batched_transpose_32x64_pack_2x4_ediv_1x2_half.has_indirect_call, 0
	.section	.AMDGPU.csdata,"",@progbits
; Kernel info:
; codeLenInByte = 1124
; TotalNumSgprs: 48
; NumVgprs: 21
; ScratchSize: 0
; MemoryBound: 0
; FloatMode: 240
; IeeeMode: 1
; LDSByteSize: 4352 bytes/workgroup (compile time only)
; SGPRBlocks: 5
; VGPRBlocks: 5
; NumSGPRsForWavesPerEU: 48
; NumVGPRsForWavesPerEU: 21
; Occupancy: 10
; WaveLimiterHint : 0
; COMPUTE_PGM_RSRC2:SCRATCH_EN: 0
; COMPUTE_PGM_RSRC2:USER_SGPR: 6
; COMPUTE_PGM_RSRC2:TRAP_HANDLER: 0
; COMPUTE_PGM_RSRC2:TGID_X_EN: 1
; COMPUTE_PGM_RSRC2:TGID_Y_EN: 0
; COMPUTE_PGM_RSRC2:TGID_Z_EN: 0
; COMPUTE_PGM_RSRC2:TIDIG_COMP_CNT: 0
	.text
	.protected	batched_transpose_16x64_pack_1x4_ediv_1x2_half ; -- Begin function batched_transpose_16x64_pack_1x4_ediv_1x2_half
	.globl	batched_transpose_16x64_pack_1x4_ediv_1x2_half
	.p2align	8
	.type	batched_transpose_16x64_pack_1x4_ediv_1x2_half,@function
batched_transpose_16x64_pack_1x4_ediv_1x2_half: ; @batched_transpose_16x64_pack_1x4_ediv_1x2_half
; %bb.0:
	s_load_dwordx8 s[8:15], s[4:5], 0x10
	s_waitcnt lgkmcnt(0)
	s_cmp_ge_u32 s6, s11
	s_cbranch_scc1 .LBB40_11
; %bb.1:
	s_load_dwordx4 s[16:19], s[4:5], 0x0
	v_lshrrev_b32_e32 v6, 4, v0
	s_add_i32 s0, s8, 63
	s_add_i32 s4, s9, 15
	s_mov_b32 s3, 0
	v_and_b32_e32 v5, 15, v0
	v_lshlrev_b32_e32 v0, 2, v6
	s_movk_i32 s5, 0x44
	s_lshr_b32 s26, s0, 6
	s_mov_b32 s2, s9
	s_lshl_b32 s0, s9, 5
	s_mov_b32 s1, s3
	s_mul_i32 s20, s9, 33
	s_mov_b32 s21, s3
	v_mad_u32_u24 v8, v5, s5, v0
	v_lshlrev_b32_e32 v0, 2, v5
	s_and_b32 s4, s4, -16
	s_lshr_b32 s7, s8, 1
	v_lshlrev_b32_e32 v7, 1, v6
	v_mad_u32_u24 v9, v6, s5, v0
	s_sub_i32 s27, 0, s4
	s_lshl_b32 s28, s6, 4
	s_lshl_b32 s29, s10, 4
	v_mov_b32_e32 v1, 0
	v_mov_b32_e32 v10, s8
	s_lshl_b64 s[4:5], s[2:3], 1
	s_lshl_b64 s[20:21], s[20:21], 1
	;; [unrolled: 1-line block ×3, first 2 shown]
	v_mov_b32_e32 v11, s9
                                        ; implicit-def: $vgpr15
                                        ; implicit-def: $vgpr14
                                        ; implicit-def: $vgpr12
                                        ; implicit-def: $vgpr13
	s_branch .LBB40_3
.LBB40_2:                               ;   in Loop: Header=BB40_3 Depth=1
	s_or_b64 exec, exec, s[0:1]
	s_add_i32 s6, s6, s10
	s_add_i32 s28, s28, s29
	s_cmp_lt_u32 s6, s11
	s_cbranch_scc0 .LBB40_11
.LBB40_3:                               ; =>This Inner Loop Header: Depth=1
	s_mul_hi_u32 s0, s14, s6
	s_add_i32 s0, s6, s0
	s_lshr_b32 s0, s0, s15
	s_mul_hi_u32 s1, s0, s12
	s_add_i32 s1, s0, s1
	s_lshr_b32 s3, s1, s13
	s_mul_i32 s1, s3, s26
	s_sub_i32 s30, s0, s1
	v_lshl_or_b32 v0, s30, 6, v7
	s_mul_i32 s31, s27, s0
	v_mad_u64_u32 v[2:3], s[0:1], s3, v10, v[0:1]
	s_add_i32 s31, s31, s28
	s_waitcnt lgkmcnt(0)
	v_add_u32_e32 v16, s31, v5
	v_mov_b32_e32 v17, v1
	v_mad_u64_u32 v[17:18], s[0:1], v2, s2, v[16:17]
	v_cmp_gt_u32_e32 vcc, s9, v16
	s_waitcnt lgkmcnt(0)
	v_mov_b32_e32 v2, v18
	v_mad_u64_u32 v[2:3], s[0:1], v3, s2, v[2:3]
	v_cmp_gt_u32_e64 s[0:1], s8, v0
	s_and_b64 s[0:1], s[0:1], vcc
	v_mov_b32_e32 v18, v2
	v_lshlrev_b64 v[2:3], 1, v[17:18]
	s_waitcnt vmcnt(0)
	s_barrier
	s_and_saveexec_b64 s[24:25], s[0:1]
	s_cbranch_execz .LBB40_5
; %bb.4:                                ;   in Loop: Header=BB40_3 Depth=1
	v_mov_b32_e32 v4, s19
	v_add_co_u32_e64 v16, s[0:1], s18, v2
	v_addc_co_u32_e64 v17, s[0:1], v4, v3, s[0:1]
	v_mov_b32_e32 v4, s5
	v_add_co_u32_e64 v18, s[0:1], s4, v16
	v_addc_co_u32_e64 v19, s[0:1], v17, v4, s[0:1]
	global_load_ushort v13, v[16:17], off
	global_load_ushort v12, v[18:19], off
.LBB40_5:                               ;   in Loop: Header=BB40_3 Depth=1
	s_or_b64 exec, exec, s[24:25]
	v_add_u32_e32 v0, 32, v0
	v_cmp_gt_u32_e64 s[0:1], s8, v0
	s_and_b64 s[24:25], s[0:1], vcc
	s_and_saveexec_b64 s[0:1], s[24:25]
	s_cbranch_execz .LBB40_7
; %bb.6:                                ;   in Loop: Header=BB40_3 Depth=1
	v_mov_b32_e32 v0, s19
	v_add_co_u32_e32 v4, vcc, s18, v2
	v_addc_co_u32_e32 v0, vcc, v0, v3, vcc
	v_mov_b32_e32 v3, s21
	v_add_co_u32_e32 v2, vcc, s20, v4
	v_addc_co_u32_e32 v3, vcc, v0, v3, vcc
	;; [unrolled: 3-line block ×3, first 2 shown]
	global_load_ushort v14, v[16:17], off
	global_load_ushort v15, v[2:3], off
.LBB40_7:                               ;   in Loop: Header=BB40_3 Depth=1
	s_or_b64 exec, exec, s[0:1]
	s_waitcnt vmcnt(0)
	v_lshlrev_b32_e32 v0, 16, v12
	v_or_b32_sdwa v18, v0, v13 dst_sel:DWORD dst_unused:UNUSED_PAD src0_sel:DWORD src1_sel:WORD_0
	v_add_u32_e32 v0, s31, v6
	v_mad_u64_u32 v[16:17], s[0:1], s3, v11, v[0:1]
	v_lshl_or_b32 v2, s30, 5, v5
	v_mov_b32_e32 v3, v1
	v_mad_u64_u32 v[3:4], s[0:1], v16, s7, v[2:3]
	v_lshlrev_b32_e32 v19, 16, v15
	v_or_b32_sdwa v16, v19, v14 dst_sel:DWORD dst_unused:UNUSED_PAD src0_sel:DWORD src1_sel:WORD_0
	ds_write_b32 v8, v18
	ds_write_b32 v8, v16 offset:1088
	v_mad_u64_u32 v[16:17], s[0:1], v17, s7, v[4:5]
	s_waitcnt lgkmcnt(0)
	s_barrier
	v_mov_b32_e32 v4, v16
	ds_read_b32 v16, v9 offset:1088
	v_cmp_gt_u32_e64 s[0:1], s7, v2
	v_cmp_gt_u32_e32 vcc, s9, v0
	v_lshlrev_b64 v[3:4], 2, v[3:4]
	s_and_b64 s[0:1], vcc, s[0:1]
	s_and_saveexec_b64 s[24:25], s[0:1]
	s_cbranch_execz .LBB40_9
; %bb.8:                                ;   in Loop: Header=BB40_3 Depth=1
	ds_read_b32 v19, v9
	v_mov_b32_e32 v0, s17
	v_add_co_u32_e64 v17, s[0:1], s16, v3
	v_addc_co_u32_e64 v18, s[0:1], v0, v4, s[0:1]
	s_waitcnt lgkmcnt(0)
	global_store_dword v[17:18], v19, off
.LBB40_9:                               ;   in Loop: Header=BB40_3 Depth=1
	s_or_b64 exec, exec, s[24:25]
	v_or_b32_e32 v0, 16, v2
	v_cmp_gt_u32_e64 s[0:1], s7, v0
	s_and_b64 s[24:25], vcc, s[0:1]
	s_and_saveexec_b64 s[0:1], s[24:25]
	s_cbranch_execz .LBB40_2
; %bb.10:                               ;   in Loop: Header=BB40_3 Depth=1
	v_mov_b32_e32 v0, s17
	v_add_co_u32_e32 v2, vcc, s16, v3
	v_addc_co_u32_e32 v3, vcc, v0, v4, vcc
	s_waitcnt lgkmcnt(0)
	global_store_dword v[2:3], v16, off offset:64
	s_branch .LBB40_2
.LBB40_11:
	s_endpgm
	.section	.rodata,"a",@progbits
	.p2align	6, 0x0
	.amdhsa_kernel batched_transpose_16x64_pack_1x4_ediv_1x2_half
		.amdhsa_group_segment_fixed_size 2176
		.amdhsa_private_segment_fixed_size 0
		.amdhsa_kernarg_size 48
		.amdhsa_user_sgpr_count 6
		.amdhsa_user_sgpr_private_segment_buffer 1
		.amdhsa_user_sgpr_dispatch_ptr 0
		.amdhsa_user_sgpr_queue_ptr 0
		.amdhsa_user_sgpr_kernarg_segment_ptr 1
		.amdhsa_user_sgpr_dispatch_id 0
		.amdhsa_user_sgpr_flat_scratch_init 0
		.amdhsa_user_sgpr_private_segment_size 0
		.amdhsa_uses_dynamic_stack 0
		.amdhsa_system_sgpr_private_segment_wavefront_offset 0
		.amdhsa_system_sgpr_workgroup_id_x 1
		.amdhsa_system_sgpr_workgroup_id_y 0
		.amdhsa_system_sgpr_workgroup_id_z 0
		.amdhsa_system_sgpr_workgroup_info 0
		.amdhsa_system_vgpr_workitem_id 0
		.amdhsa_next_free_vgpr 20
		.amdhsa_next_free_sgpr 32
		.amdhsa_reserve_vcc 1
		.amdhsa_reserve_flat_scratch 0
		.amdhsa_float_round_mode_32 0
		.amdhsa_float_round_mode_16_64 0
		.amdhsa_float_denorm_mode_32 3
		.amdhsa_float_denorm_mode_16_64 3
		.amdhsa_dx10_clamp 1
		.amdhsa_ieee_mode 1
		.amdhsa_fp16_overflow 0
		.amdhsa_exception_fp_ieee_invalid_op 0
		.amdhsa_exception_fp_denorm_src 0
		.amdhsa_exception_fp_ieee_div_zero 0
		.amdhsa_exception_fp_ieee_overflow 0
		.amdhsa_exception_fp_ieee_underflow 0
		.amdhsa_exception_fp_ieee_inexact 0
		.amdhsa_exception_int_div_zero 0
	.end_amdhsa_kernel
	.text
.Lfunc_end40:
	.size	batched_transpose_16x64_pack_1x4_ediv_1x2_half, .Lfunc_end40-batched_transpose_16x64_pack_1x4_ediv_1x2_half
                                        ; -- End function
	.set batched_transpose_16x64_pack_1x4_ediv_1x2_half.num_vgpr, 20
	.set batched_transpose_16x64_pack_1x4_ediv_1x2_half.num_agpr, 0
	.set batched_transpose_16x64_pack_1x4_ediv_1x2_half.numbered_sgpr, 32
	.set batched_transpose_16x64_pack_1x4_ediv_1x2_half.num_named_barrier, 0
	.set batched_transpose_16x64_pack_1x4_ediv_1x2_half.private_seg_size, 0
	.set batched_transpose_16x64_pack_1x4_ediv_1x2_half.uses_vcc, 1
	.set batched_transpose_16x64_pack_1x4_ediv_1x2_half.uses_flat_scratch, 0
	.set batched_transpose_16x64_pack_1x4_ediv_1x2_half.has_dyn_sized_stack, 0
	.set batched_transpose_16x64_pack_1x4_ediv_1x2_half.has_recursion, 0
	.set batched_transpose_16x64_pack_1x4_ediv_1x2_half.has_indirect_call, 0
	.section	.AMDGPU.csdata,"",@progbits
; Kernel info:
; codeLenInByte = 684
; TotalNumSgprs: 36
; NumVgprs: 20
; ScratchSize: 0
; MemoryBound: 0
; FloatMode: 240
; IeeeMode: 1
; LDSByteSize: 2176 bytes/workgroup (compile time only)
; SGPRBlocks: 4
; VGPRBlocks: 4
; NumSGPRsForWavesPerEU: 36
; NumVGPRsForWavesPerEU: 20
; Occupancy: 10
; WaveLimiterHint : 0
; COMPUTE_PGM_RSRC2:SCRATCH_EN: 0
; COMPUTE_PGM_RSRC2:USER_SGPR: 6
; COMPUTE_PGM_RSRC2:TRAP_HANDLER: 0
; COMPUTE_PGM_RSRC2:TGID_X_EN: 1
; COMPUTE_PGM_RSRC2:TGID_Y_EN: 0
; COMPUTE_PGM_RSRC2:TGID_Z_EN: 0
; COMPUTE_PGM_RSRC2:TIDIG_COMP_CNT: 0
	.text
	.protected	batched_transpose_64x16_pack_4x1_ediv_2x1_half ; -- Begin function batched_transpose_64x16_pack_4x1_ediv_2x1_half
	.globl	batched_transpose_64x16_pack_4x1_ediv_2x1_half
	.p2align	8
	.type	batched_transpose_64x16_pack_4x1_ediv_2x1_half,@function
batched_transpose_64x16_pack_4x1_ediv_2x1_half: ; @batched_transpose_64x16_pack_4x1_ediv_2x1_half
; %bb.0:
	s_load_dwordx8 s[8:15], s[4:5], 0x10
	s_waitcnt lgkmcnt(0)
	s_cmp_ge_u32 s6, s11
	s_cbranch_scc1 .LBB41_11
; %bb.1:
	s_load_dwordx4 s[16:19], s[4:5], 0x0
	s_add_i32 s0, s8, 15
	s_add_i32 s4, s9, 63
	v_and_b32_e32 v5, 15, v0
	v_lshrrev_b32_e32 v6, 4, v0
	s_lshr_b32 s26, s0, 4
	s_mov_b32 s3, 0
	v_lshlrev_b32_e32 v0, 2, v6
	s_movk_i32 s0, 0x44
	v_lshlrev_b32_e32 v1, 2, v5
	s_and_b32 s22, s4, 0xffffffc0
	s_lshr_b32 s4, s4, 1
	s_mov_b32 s2, s8
	v_mad_u32_u24 v7, v5, s0, v0
	v_lshlrev_b32_e32 v0, 1, v6
	v_mad_u32_u24 v8, v6, s0, v1
	s_lshl_b32 s0, s8, 5
	s_mov_b32 s1, s3
	s_mul_i32 s20, s8, 33
	s_mov_b32 s21, s3
	s_and_b32 s4, s4, 0x7fffffe0
	s_lshr_b32 s7, s9, 1
	s_sub_i32 s27, 0, s22
	v_lshl_or_b32 v9, s6, 6, v0
	s_lshl_b32 s28, s10, 6
	s_sub_i32 s29, 0, s4
	v_lshl_or_b32 v10, s6, 5, v5
	s_lshl_b32 s30, s10, 5
	v_mov_b32_e32 v1, 0
	v_mov_b32_e32 v11, s8
	;; [unrolled: 1-line block ×3, first 2 shown]
	s_lshl_b64 s[4:5], s[2:3], 1
	s_lshl_b64 s[20:21], s[20:21], 1
	;; [unrolled: 1-line block ×3, first 2 shown]
                                        ; implicit-def: $vgpr13
                                        ; implicit-def: $vgpr14
	s_branch .LBB41_3
.LBB41_2:                               ;   in Loop: Header=BB41_3 Depth=1
	s_or_b64 exec, exec, s[0:1]
	s_add_i32 s6, s6, s10
	v_add_u32_e32 v9, s28, v9
	s_cmp_lt_u32 s6, s11
	v_add_u32_e32 v10, s30, v10
	s_cbranch_scc0 .LBB41_11
.LBB41_3:                               ; =>This Inner Loop Header: Depth=1
	s_mul_hi_u32 s0, s14, s6
	s_add_i32 s0, s6, s0
	s_lshr_b32 s31, s0, s15
	s_mul_hi_u32 s0, s31, s12
	s_add_i32 s0, s31, s0
	s_lshr_b32 s3, s0, s13
	s_mul_i32 s0, s3, s26
	s_sub_i32 s0, s31, s0
	s_lshl_b32 s33, s0, 4
	v_or_b32_e32 v0, s33, v6
	v_mad_u64_u32 v[15:16], s[0:1], s3, v11, v[0:1]
	s_mul_i32 s24, s29, s31
	v_add_u32_e32 v2, s24, v10
	v_mov_b32_e32 v3, v1
	s_waitcnt lgkmcnt(0)
	v_mad_u64_u32 v[3:4], s[0:1], v15, s7, v[2:3]
	v_cmp_gt_u32_e32 vcc, s8, v0
	s_waitcnt lgkmcnt(0)
	v_mad_u64_u32 v[15:16], s[0:1], v16, s7, v[4:5]
	v_cmp_gt_u32_e64 s[0:1], s7, v2
	s_and_b64 s[0:1], vcc, s[0:1]
	v_mov_b32_e32 v4, v15
	v_lshlrev_b64 v[3:4], 2, v[3:4]
	s_waitcnt vmcnt(0)
	s_barrier
	s_and_saveexec_b64 s[24:25], s[0:1]
	s_cbranch_execz .LBB41_5
; %bb.4:                                ;   in Loop: Header=BB41_3 Depth=1
	v_mov_b32_e32 v0, s19
	v_add_co_u32_e64 v14, s[0:1], s18, v3
	v_addc_co_u32_e64 v15, s[0:1], v0, v4, s[0:1]
	global_load_dword v14, v[14:15], off
.LBB41_5:                               ;   in Loop: Header=BB41_3 Depth=1
	s_or_b64 exec, exec, s[24:25]
	v_add_u32_e32 v0, 16, v2
	v_cmp_gt_u32_e64 s[0:1], s7, v0
	s_and_b64 s[24:25], vcc, s[0:1]
	s_and_saveexec_b64 s[0:1], s[24:25]
	s_cbranch_execz .LBB41_7
; %bb.6:                                ;   in Loop: Header=BB41_3 Depth=1
	v_mov_b32_e32 v0, s19
	v_add_co_u32_e32 v2, vcc, s18, v3
	v_addc_co_u32_e32 v3, vcc, v0, v4, vcc
	global_load_dword v13, v[2:3], off offset:64
.LBB41_7:                               ;   in Loop: Header=BB41_3 Depth=1
	s_or_b64 exec, exec, s[0:1]
	s_mul_i32 s0, s27, s31
	v_add_u32_e32 v0, s0, v9
	v_mad_u64_u32 v[2:3], s[0:1], s3, v12, v[0:1]
	v_or_b32_e32 v15, s33, v5
	v_mov_b32_e32 v16, v1
	v_mad_u64_u32 v[16:17], s[0:1], v2, s2, v[15:16]
	s_waitcnt vmcnt(0)
	ds_write_b32 v7, v14
	ds_write_b32 v7, v13 offset:1088
	s_waitcnt lgkmcnt(0)
	v_mov_b32_e32 v2, v17
	v_mad_u64_u32 v[2:3], s[0:1], v3, s2, v[2:3]
	s_barrier
	ds_read_b32 v4, v8 offset:1088
	v_mov_b32_e32 v17, v2
	v_cmp_gt_u32_e32 vcc, s8, v15
	v_cmp_gt_u32_e64 s[0:1], s9, v0
	v_lshlrev_b64 v[2:3], 1, v[16:17]
	s_and_b64 s[0:1], vcc, s[0:1]
	s_and_saveexec_b64 s[24:25], s[0:1]
	s_cbranch_execz .LBB41_9
; %bb.8:                                ;   in Loop: Header=BB41_3 Depth=1
	ds_read_b32 v19, v8
	v_mov_b32_e32 v16, s17
	v_add_co_u32_e64 v15, s[0:1], s16, v2
	v_addc_co_u32_e64 v16, s[0:1], v16, v3, s[0:1]
	v_mov_b32_e32 v18, s5
	v_add_co_u32_e64 v17, s[0:1], s4, v15
	v_addc_co_u32_e64 v18, s[0:1], v16, v18, s[0:1]
	s_waitcnt lgkmcnt(0)
	global_store_short v[15:16], v19, off
	global_store_short_d16_hi v[17:18], v19, off
.LBB41_9:                               ;   in Loop: Header=BB41_3 Depth=1
	s_or_b64 exec, exec, s[24:25]
	v_add_u32_e32 v0, 32, v0
	v_cmp_gt_u32_e64 s[0:1], s9, v0
	s_and_b64 s[24:25], vcc, s[0:1]
	s_and_saveexec_b64 s[0:1], s[24:25]
	s_cbranch_execz .LBB41_2
; %bb.10:                               ;   in Loop: Header=BB41_3 Depth=1
	v_mov_b32_e32 v0, s17
	v_add_co_u32_e32 v15, vcc, s16, v2
	v_addc_co_u32_e32 v0, vcc, v0, v3, vcc
	v_mov_b32_e32 v3, s21
	v_add_co_u32_e32 v2, vcc, s20, v15
	v_addc_co_u32_e32 v3, vcc, v0, v3, vcc
	;; [unrolled: 3-line block ×3, first 2 shown]
	s_waitcnt lgkmcnt(0)
	global_store_short v[15:16], v4, off
	global_store_short_d16_hi v[2:3], v4, off
	s_branch .LBB41_2
.LBB41_11:
	s_endpgm
	.section	.rodata,"a",@progbits
	.p2align	6, 0x0
	.amdhsa_kernel batched_transpose_64x16_pack_4x1_ediv_2x1_half
		.amdhsa_group_segment_fixed_size 2176
		.amdhsa_private_segment_fixed_size 0
		.amdhsa_kernarg_size 48
		.amdhsa_user_sgpr_count 6
		.amdhsa_user_sgpr_private_segment_buffer 1
		.amdhsa_user_sgpr_dispatch_ptr 0
		.amdhsa_user_sgpr_queue_ptr 0
		.amdhsa_user_sgpr_kernarg_segment_ptr 1
		.amdhsa_user_sgpr_dispatch_id 0
		.amdhsa_user_sgpr_flat_scratch_init 0
		.amdhsa_user_sgpr_private_segment_size 0
		.amdhsa_uses_dynamic_stack 0
		.amdhsa_system_sgpr_private_segment_wavefront_offset 0
		.amdhsa_system_sgpr_workgroup_id_x 1
		.amdhsa_system_sgpr_workgroup_id_y 0
		.amdhsa_system_sgpr_workgroup_id_z 0
		.amdhsa_system_sgpr_workgroup_info 0
		.amdhsa_system_vgpr_workitem_id 0
		.amdhsa_next_free_vgpr 20
		.amdhsa_next_free_sgpr 34
		.amdhsa_reserve_vcc 1
		.amdhsa_reserve_flat_scratch 0
		.amdhsa_float_round_mode_32 0
		.amdhsa_float_round_mode_16_64 0
		.amdhsa_float_denorm_mode_32 3
		.amdhsa_float_denorm_mode_16_64 3
		.amdhsa_dx10_clamp 1
		.amdhsa_ieee_mode 1
		.amdhsa_fp16_overflow 0
		.amdhsa_exception_fp_ieee_invalid_op 0
		.amdhsa_exception_fp_denorm_src 0
		.amdhsa_exception_fp_ieee_div_zero 0
		.amdhsa_exception_fp_ieee_overflow 0
		.amdhsa_exception_fp_ieee_underflow 0
		.amdhsa_exception_fp_ieee_inexact 0
		.amdhsa_exception_int_div_zero 0
	.end_amdhsa_kernel
	.text
.Lfunc_end41:
	.size	batched_transpose_64x16_pack_4x1_ediv_2x1_half, .Lfunc_end41-batched_transpose_64x16_pack_4x1_ediv_2x1_half
                                        ; -- End function
	.set batched_transpose_64x16_pack_4x1_ediv_2x1_half.num_vgpr, 20
	.set batched_transpose_64x16_pack_4x1_ediv_2x1_half.num_agpr, 0
	.set batched_transpose_64x16_pack_4x1_ediv_2x1_half.numbered_sgpr, 34
	.set batched_transpose_64x16_pack_4x1_ediv_2x1_half.num_named_barrier, 0
	.set batched_transpose_64x16_pack_4x1_ediv_2x1_half.private_seg_size, 0
	.set batched_transpose_64x16_pack_4x1_ediv_2x1_half.uses_vcc, 1
	.set batched_transpose_64x16_pack_4x1_ediv_2x1_half.uses_flat_scratch, 0
	.set batched_transpose_64x16_pack_4x1_ediv_2x1_half.has_dyn_sized_stack, 0
	.set batched_transpose_64x16_pack_4x1_ediv_2x1_half.has_recursion, 0
	.set batched_transpose_64x16_pack_4x1_ediv_2x1_half.has_indirect_call, 0
	.section	.AMDGPU.csdata,"",@progbits
; Kernel info:
; codeLenInByte = 696
; TotalNumSgprs: 38
; NumVgprs: 20
; ScratchSize: 0
; MemoryBound: 0
; FloatMode: 240
; IeeeMode: 1
; LDSByteSize: 2176 bytes/workgroup (compile time only)
; SGPRBlocks: 4
; VGPRBlocks: 4
; NumSGPRsForWavesPerEU: 38
; NumVGPRsForWavesPerEU: 20
; Occupancy: 10
; WaveLimiterHint : 0
; COMPUTE_PGM_RSRC2:SCRATCH_EN: 0
; COMPUTE_PGM_RSRC2:USER_SGPR: 6
; COMPUTE_PGM_RSRC2:TRAP_HANDLER: 0
; COMPUTE_PGM_RSRC2:TGID_X_EN: 1
; COMPUTE_PGM_RSRC2:TGID_Y_EN: 0
; COMPUTE_PGM_RSRC2:TGID_Z_EN: 0
; COMPUTE_PGM_RSRC2:TIDIG_COMP_CNT: 0
	.text
	.protected	batched_transpose_64x64_pack_4x4_ediv_4x4_half ; -- Begin function batched_transpose_64x64_pack_4x4_ediv_4x4_half
	.globl	batched_transpose_64x64_pack_4x4_ediv_4x4_half
	.p2align	8
	.type	batched_transpose_64x64_pack_4x4_ediv_4x4_half,@function
batched_transpose_64x64_pack_4x4_ediv_4x4_half: ; @batched_transpose_64x64_pack_4x4_ediv_4x4_half
; %bb.0:
	s_load_dwordx8 s[8:15], s[4:5], 0x10
	s_waitcnt lgkmcnt(0)
	s_cmp_ge_u32 s6, s11
	s_cbranch_scc1 .LBB42_7
; %bb.1:
	s_load_dwordx4 s[16:19], s[4:5], 0x0
	s_add_i32 s20, s9, 63
	v_and_b32_e32 v12, 15, v0
	v_lshrrev_b32_e32 v1, 4, v0
	v_and_b32_e32 v0, 0xf0, v0
	s_movk_i32 s3, 0x110
	s_lshr_b32 s2, s8, 2
	s_lshr_b32 s4, s9, 2
	s_add_i32 s0, s8, 63
	s_mov_b32 s5, 0
	v_mad_u32_u24 v14, v12, s3, v0
	v_lshlrev_b32_e32 v0, 4, v12
	s_and_b32 s21, s20, 0xffffffc0
	s_lshr_b32 s20, s20, 2
	s_lshr_b32 s7, s0, 6
	v_lshlrev_b32_e32 v13, 2, v1
	s_lshl_b32 s0, s4, 1
	s_mov_b32 s1, s5
	s_mul_i32 s24, s4, 3
	s_mov_b32 s25, s5
	v_mad_u32_u24 v15, v1, s3, v0
	s_mov_b32 s3, s5
	s_lshl_b32 s28, s2, 1
	s_mov_b32 s29, s5
	s_mul_i32 s30, s2, 3
	s_mov_b32 s31, s5
	s_and_b32 s20, s20, 0x3ffffff0
	s_mov_b32 s33, s9
	s_sub_i32 s34, 0, s21
	v_lshl_or_b32 v16, s6, 6, v13
	s_lshl_b32 s35, s10, 6
	s_sub_i32 s36, 0, s20
	v_lshl_or_b32 v17, s6, 4, v12
	s_lshl_b32 s37, s10, 4
	v_mov_b32_e32 v1, 0
	s_lshl_b64 s[20:21], s[4:5], 3
	s_lshl_b64 s[22:23], s[0:1], 3
	;; [unrolled: 1-line block ×3, first 2 shown]
	s_mov_b32 s5, 0xffff0000
	s_mov_b32 s38, 0x3020706
	s_lshl_b64 s[26:27], s[2:3], 3
	s_lshl_b64 s[28:29], s[28:29], 3
	s_lshl_b64 s[30:31], s[30:31], 3
                                        ; implicit-def: $vgpr8_vgpr9
                                        ; implicit-def: $vgpr2_vgpr3
                                        ; implicit-def: $vgpr4_vgpr5
                                        ; implicit-def: $vgpr6_vgpr7
	s_branch .LBB42_3
.LBB42_2:                               ;   in Loop: Header=BB42_3 Depth=1
	s_or_b64 exec, exec, s[0:1]
	s_add_i32 s6, s6, s10
	v_add_u32_e32 v16, s35, v16
	s_cmp_lt_u32 s6, s11
	v_add_u32_e32 v17, s37, v17
	s_cbranch_scc0 .LBB42_7
.LBB42_3:                               ; =>This Inner Loop Header: Depth=1
	s_mul_hi_u32 s0, s14, s6
	s_add_i32 s0, s6, s0
	s_lshr_b32 s39, s0, s15
	s_mul_hi_u32 s0, s39, s12
	s_add_i32 s0, s39, s0
	s_lshr_b32 s3, s0, s13
	s_mul_i32 s0, s3, s7
	s_sub_i32 s40, s39, s0
	s_mul_i32 s0, s36, s39
	v_add_u32_e32 v10, s0, v17
	v_lshl_or_b32 v0, s40, 6, v13
	v_cmp_gt_u32_e32 vcc, s8, v0
	v_cmp_gt_u32_e64 s[0:1], s4, v10
	s_and_b64 s[42:43], vcc, s[0:1]
	s_waitcnt vmcnt(0) lgkmcnt(0)
	s_barrier
	s_and_saveexec_b64 s[0:1], s[42:43]
	s_cbranch_execz .LBB42_5
; %bb.4:                                ;   in Loop: Header=BB42_3 Depth=1
	v_mov_b32_e32 v2, s8
	v_mad_u64_u32 v[2:3], s[42:43], s3, v2, v[0:1]
	v_mov_b32_e32 v11, v1
	v_lshlrev_b64 v[6:7], 3, v[10:11]
	v_mad_u64_u32 v[4:5], s[42:43], v2, s4, 0
	v_mov_b32_e32 v0, v5
	v_mad_u64_u32 v[2:3], s[42:43], v3, s4, v[0:1]
	v_mov_b32_e32 v0, s19
	v_mov_b32_e32 v5, v2
	v_lshlrev_b64 v[2:3], 3, v[4:5]
	v_add_co_u32_e32 v2, vcc, s18, v2
	v_addc_co_u32_e32 v0, vcc, v0, v3, vcc
	v_add_co_u32_e32 v10, vcc, v2, v6
	v_addc_co_u32_e32 v11, vcc, v0, v7, vcc
	v_mov_b32_e32 v0, s21
	v_add_co_u32_e32 v18, vcc, s20, v10
	v_addc_co_u32_e32 v19, vcc, v11, v0, vcc
	v_mov_b32_e32 v0, s23
	;; [unrolled: 3-line block ×3, first 2 shown]
	v_add_co_u32_e32 v22, vcc, s24, v10
	v_addc_co_u32_e32 v23, vcc, v11, v0, vcc
	global_load_dwordx2 v[6:7], v[10:11], off
	global_load_dwordx2 v[4:5], v[18:19], off
	;; [unrolled: 1-line block ×4, first 2 shown]
.LBB42_5:                               ;   in Loop: Header=BB42_3 Depth=1
	s_or_b64 exec, exec, s[0:1]
	s_waitcnt vmcnt(3)
	v_and_b32_e32 v0, 0xffff, v6
	s_waitcnt vmcnt(2)
	v_lshl_or_b32 v18, v4, 16, v0
	v_lshrrev_b32_e32 v0, 16, v6
	v_and_or_b32 v20, v4, s5, v0
	v_and_b32_e32 v0, 0xffff, v7
	v_lshl_or_b32 v22, v5, 16, v0
	s_waitcnt vmcnt(1)
	v_and_b32_e32 v0, 0xffff, v2
	s_waitcnt vmcnt(0)
	v_lshl_or_b32 v19, v8, 16, v0
	v_lshrrev_b32_e32 v0, 16, v2
	v_and_or_b32 v21, v8, s5, v0
	v_and_b32_e32 v0, 0xffff, v3
	s_mul_i32 s0, s34, s39
	v_lshl_or_b32 v23, v9, 16, v0
	v_lshl_or_b32 v10, s40, 4, v12
	v_add_u32_e32 v0, s0, v16
	v_cmp_gt_u32_e32 vcc, s2, v10
	v_cmp_gt_u32_e64 s[0:1], s9, v0
	s_and_b64 s[40:41], s[0:1], vcc
	v_perm_b32 v24, v7, v5, s38
	v_perm_b32 v25, v3, v9, s38
	ds_write_b128 v14, v[18:21]
	ds_write_b128 v14, v[22:25] offset:4352
	s_waitcnt lgkmcnt(0)
	s_barrier
	s_and_saveexec_b64 s[0:1], s[40:41]
	s_cbranch_execz .LBB42_2
; %bb.6:                                ;   in Loop: Header=BB42_3 Depth=1
	v_mov_b32_e32 v11, s33
	v_mad_u64_u32 v[18:19], s[40:41], s3, v11, v[0:1]
	v_mov_b32_e32 v11, v1
	v_lshlrev_b64 v[10:11], 3, v[10:11]
	v_mad_u64_u32 v[26:27], s[40:41], v18, s2, 0
	v_mov_b32_e32 v0, v27
	v_mad_u64_u32 v[27:28], s[40:41], v19, s2, v[0:1]
	ds_read_b128 v[18:21], v15 offset:4352
	ds_read_b128 v[22:25], v15
	v_mov_b32_e32 v0, s17
	v_lshlrev_b64 v[26:27], 3, v[26:27]
	v_add_co_u32_e32 v26, vcc, s16, v26
	v_addc_co_u32_e32 v0, vcc, v0, v27, vcc
	v_add_co_u32_e32 v10, vcc, v26, v10
	v_addc_co_u32_e32 v11, vcc, v0, v11, vcc
	s_waitcnt lgkmcnt(0)
	global_store_dwordx2 v[10:11], v[22:23], off
	v_mov_b32_e32 v0, s27
	v_add_co_u32_e32 v22, vcc, s26, v10
	v_addc_co_u32_e32 v23, vcc, v11, v0, vcc
	global_store_dwordx2 v[22:23], v[24:25], off
	v_mov_b32_e32 v0, s29
	v_add_co_u32_e32 v22, vcc, s28, v10
	v_addc_co_u32_e32 v23, vcc, v11, v0, vcc
	v_mov_b32_e32 v0, s31
	v_add_co_u32_e32 v10, vcc, s30, v10
	v_addc_co_u32_e32 v11, vcc, v11, v0, vcc
	global_store_dwordx2 v[22:23], v[18:19], off
	global_store_dwordx2 v[10:11], v[20:21], off
	s_branch .LBB42_2
.LBB42_7:
	s_endpgm
	.section	.rodata,"a",@progbits
	.p2align	6, 0x0
	.amdhsa_kernel batched_transpose_64x64_pack_4x4_ediv_4x4_half
		.amdhsa_group_segment_fixed_size 8704
		.amdhsa_private_segment_fixed_size 0
		.amdhsa_kernarg_size 48
		.amdhsa_user_sgpr_count 6
		.amdhsa_user_sgpr_private_segment_buffer 1
		.amdhsa_user_sgpr_dispatch_ptr 0
		.amdhsa_user_sgpr_queue_ptr 0
		.amdhsa_user_sgpr_kernarg_segment_ptr 1
		.amdhsa_user_sgpr_dispatch_id 0
		.amdhsa_user_sgpr_flat_scratch_init 0
		.amdhsa_user_sgpr_private_segment_size 0
		.amdhsa_uses_dynamic_stack 0
		.amdhsa_system_sgpr_private_segment_wavefront_offset 0
		.amdhsa_system_sgpr_workgroup_id_x 1
		.amdhsa_system_sgpr_workgroup_id_y 0
		.amdhsa_system_sgpr_workgroup_id_z 0
		.amdhsa_system_sgpr_workgroup_info 0
		.amdhsa_system_vgpr_workitem_id 0
		.amdhsa_next_free_vgpr 33
		.amdhsa_next_free_sgpr 77
		.amdhsa_reserve_vcc 1
		.amdhsa_reserve_flat_scratch 0
		.amdhsa_float_round_mode_32 0
		.amdhsa_float_round_mode_16_64 0
		.amdhsa_float_denorm_mode_32 3
		.amdhsa_float_denorm_mode_16_64 3
		.amdhsa_dx10_clamp 1
		.amdhsa_ieee_mode 1
		.amdhsa_fp16_overflow 0
		.amdhsa_exception_fp_ieee_invalid_op 0
		.amdhsa_exception_fp_denorm_src 0
		.amdhsa_exception_fp_ieee_div_zero 0
		.amdhsa_exception_fp_ieee_overflow 0
		.amdhsa_exception_fp_ieee_underflow 0
		.amdhsa_exception_fp_ieee_inexact 0
		.amdhsa_exception_int_div_zero 0
	.end_amdhsa_kernel
	.text
.Lfunc_end42:
	.size	batched_transpose_64x64_pack_4x4_ediv_4x4_half, .Lfunc_end42-batched_transpose_64x64_pack_4x4_ediv_4x4_half
                                        ; -- End function
	.set batched_transpose_64x64_pack_4x4_ediv_4x4_half.num_vgpr, 29
	.set batched_transpose_64x64_pack_4x4_ediv_4x4_half.num_agpr, 0
	.set batched_transpose_64x64_pack_4x4_ediv_4x4_half.numbered_sgpr, 44
	.set batched_transpose_64x64_pack_4x4_ediv_4x4_half.num_named_barrier, 0
	.set batched_transpose_64x64_pack_4x4_ediv_4x4_half.private_seg_size, 0
	.set batched_transpose_64x64_pack_4x4_ediv_4x4_half.uses_vcc, 1
	.set batched_transpose_64x64_pack_4x4_ediv_4x4_half.uses_flat_scratch, 0
	.set batched_transpose_64x64_pack_4x4_ediv_4x4_half.has_dyn_sized_stack, 0
	.set batched_transpose_64x64_pack_4x4_ediv_4x4_half.has_recursion, 0
	.set batched_transpose_64x64_pack_4x4_ediv_4x4_half.has_indirect_call, 0
	.section	.AMDGPU.csdata,"",@progbits
; Kernel info:
; codeLenInByte = 840
; TotalNumSgprs: 48
; NumVgprs: 29
; ScratchSize: 0
; MemoryBound: 0
; FloatMode: 240
; IeeeMode: 1
; LDSByteSize: 8704 bytes/workgroup (compile time only)
; SGPRBlocks: 10
; VGPRBlocks: 8
; NumSGPRsForWavesPerEU: 81
; NumVGPRsForWavesPerEU: 33
; Occupancy: 7
; WaveLimiterHint : 0
; COMPUTE_PGM_RSRC2:SCRATCH_EN: 0
; COMPUTE_PGM_RSRC2:USER_SGPR: 6
; COMPUTE_PGM_RSRC2:TRAP_HANDLER: 0
; COMPUTE_PGM_RSRC2:TGID_X_EN: 1
; COMPUTE_PGM_RSRC2:TGID_Y_EN: 0
; COMPUTE_PGM_RSRC2:TGID_Z_EN: 0
; COMPUTE_PGM_RSRC2:TIDIG_COMP_CNT: 0
	.text
	.protected	batched_transpose_64x64_pack_4x4_ediv_2x2_half ; -- Begin function batched_transpose_64x64_pack_4x4_ediv_2x2_half
	.globl	batched_transpose_64x64_pack_4x4_ediv_2x2_half
	.p2align	8
	.type	batched_transpose_64x64_pack_4x4_ediv_2x2_half,@function
batched_transpose_64x64_pack_4x4_ediv_2x2_half: ; @batched_transpose_64x64_pack_4x4_ediv_2x2_half
; %bb.0:
	s_load_dwordx8 s[8:15], s[4:5], 0x10
	s_waitcnt lgkmcnt(0)
	s_cmp_ge_u32 s6, s11
	s_cbranch_scc1 .LBB43_19
; %bb.1:
	v_and_b32_e32 v20, 15, v0
	v_lshrrev_b32_e32 v1, 4, v0
	v_and_b32_e32 v0, 0xf0, v0
	s_movk_i32 s22, 0x110
	s_load_dwordx4 s[16:19], s[4:5], 0x0
	v_mad_u32_u24 v22, v20, s22, v0
	v_lshlrev_b32_e32 v0, 4, v20
	s_add_i32 s26, s9, 63
	v_lshlrev_b32_e32 v21, 1, v1
	v_mad_u32_u24 v23, v1, s22, v0
	v_mov_b32_e32 v1, 0
	s_lshr_b32 s20, s9, 1
	s_add_i32 s0, s8, 63
	s_mov_b32 s21, 0
	s_and_b32 s27, s26, 0xffffffc0
	s_lshr_b32 s26, s26, 1
	v_mov_b32_e32 v2, v1
	v_mov_b32_e32 v3, v1
	;; [unrolled: 1-line block ×6, first 2 shown]
	s_lshr_b32 s4, s8, 1
	s_lshr_b32 s7, s0, 6
	s_lshl_b32 s0, s20, 5
	s_mov_b32 s1, s21
	s_mul_i32 s2, s20, 33
	s_mov_b32 s3, s21
	s_mov_b32 s5, s21
	s_and_b32 s26, s26, 0x7fffffe0
	v_mov_b32_e32 v0, v1
	v_mov_b32_e32 v9, v7
	s_mov_b32 s33, s9
	s_lshl_b32 s22, s4, 5
	s_mov_b32 s23, s21
	s_mul_i32 s24, s4, 33
	s_mov_b32 s25, s21
	s_sub_i32 s38, 0, s27
	v_lshl_or_b32 v24, s6, 6, v21
	s_lshl_b32 s39, s10, 6
	s_sub_i32 s40, 0, s26
	v_lshl_or_b32 v25, s6, 5, v20
	s_lshl_b32 s41, s10, 5
	v_mov_b32_e32 v26, s8
	s_lshl_b64 s[26:27], s[20:21], 2
	s_lshl_b64 s[28:29], s[2:3], 2
	;; [unrolled: 1-line block ×3, first 2 shown]
	s_mov_b32 s21, 0xffff0000
	s_lshl_b64 s[34:35], s[4:5], 2
	v_mov_b32_e32 v8, v6
	v_mov_b32_e32 v7, v5
	;; [unrolled: 1-line block ×7, first 2 shown]
	s_branch .LBB43_3
.LBB43_2:                               ;   in Loop: Header=BB43_3 Depth=1
	s_or_b64 exec, exec, s[0:1]
	s_add_i32 s6, s6, s10
	v_add_u32_e32 v24, s39, v24
	s_cmp_lt_u32 s6, s11
	v_add_u32_e32 v25, s41, v25
	s_cbranch_scc0 .LBB43_19
.LBB43_3:                               ; =>This Inner Loop Header: Depth=1
	s_mul_hi_u32 s0, s14, s6
	s_add_i32 s0, s6, s0
	s_lshr_b32 s43, s0, s15
	s_mul_hi_u32 s0, s43, s12
	s_add_i32 s0, s43, s0
	s_lshr_b32 s5, s0, s13
	s_mul_i32 s0, s5, s7
	s_sub_i32 s42, s43, s0
	v_lshl_or_b32 v0, s42, 6, v21
	s_waitcnt lgkmcnt(0)
	v_mad_u64_u32 v[10:11], s[0:1], s5, v26, v[0:1]
	s_mul_i32 s2, s40, s43
	v_add_u32_e32 v12, s2, v25
	v_mov_b32_e32 v13, v1
	v_mad_u64_u32 v[13:14], s[0:1], v10, s20, v[12:13]
	v_cmp_gt_u32_e64 s[2:3], s8, v0
	v_cmp_gt_u32_e32 vcc, s20, v12
	v_mov_b32_e32 v10, v14
	v_mad_u64_u32 v[10:11], s[0:1], v11, s20, v[10:11]
	s_and_b64 s[0:1], s[2:3], vcc
	s_waitcnt lgkmcnt(0)
	v_mov_b32_e32 v14, v10
	v_lshlrev_b64 v[10:11], 2, v[13:14]
	s_waitcnt vmcnt(0)
	s_barrier
	s_and_saveexec_b64 s[36:37], s[0:1]
	s_cbranch_execz .LBB43_5
; %bb.4:                                ;   in Loop: Header=BB43_3 Depth=1
	v_mov_b32_e32 v2, s19
	v_add_co_u32_e64 v13, s[0:1], s18, v10
	v_addc_co_u32_e64 v14, s[0:1], v2, v11, s[0:1]
	v_mov_b32_e32 v2, s27
	v_add_co_u32_e64 v15, s[0:1], s26, v13
	v_addc_co_u32_e64 v16, s[0:1], v14, v2, s[0:1]
	global_load_dword v2, v[13:14], off
	global_load_dword v4, v[15:16], off
.LBB43_5:                               ;   in Loop: Header=BB43_3 Depth=1
	s_or_b64 exec, exec, s[36:37]
	v_add_u32_e32 v12, 16, v12
	v_cmp_gt_u32_e64 s[0:1], s20, v12
	s_and_b64 s[2:3], s[2:3], s[0:1]
	s_and_saveexec_b64 s[36:37], s[2:3]
	s_cbranch_execz .LBB43_7
; %bb.6:                                ;   in Loop: Header=BB43_3 Depth=1
	v_mov_b32_e32 v3, s19
	v_add_co_u32_e64 v12, s[2:3], s18, v10
	v_addc_co_u32_e64 v13, s[2:3], v3, v11, s[2:3]
	v_mov_b32_e32 v3, s27
	v_add_co_u32_e64 v14, s[2:3], s26, v12
	v_addc_co_u32_e64 v15, s[2:3], v13, v3, s[2:3]
	global_load_dword v3, v[12:13], off offset:64
	global_load_dword v5, v[14:15], off offset:64
.LBB43_7:                               ;   in Loop: Header=BB43_3 Depth=1
	s_or_b64 exec, exec, s[36:37]
	v_add_u32_e32 v0, 32, v0
	v_cmp_gt_u32_e64 s[2:3], s8, v0
	s_and_b64 s[44:45], s[2:3], vcc
	s_and_saveexec_b64 s[36:37], s[44:45]
	s_cbranch_execz .LBB43_9
; %bb.8:                                ;   in Loop: Header=BB43_3 Depth=1
	v_mov_b32_e32 v0, s19
	v_add_co_u32_e32 v6, vcc, s18, v10
	v_addc_co_u32_e32 v0, vcc, v0, v11, vcc
	v_mov_b32_e32 v8, s29
	v_add_co_u32_e32 v12, vcc, s28, v6
	v_addc_co_u32_e32 v13, vcc, v0, v8, vcc
	;; [unrolled: 3-line block ×3, first 2 shown]
	global_load_dword v6, v[14:15], off
	global_load_dword v8, v[12:13], off
.LBB43_9:                               ;   in Loop: Header=BB43_3 Depth=1
	s_or_b64 exec, exec, s[36:37]
	s_and_b64 s[2:3], s[2:3], s[0:1]
	s_and_saveexec_b64 s[0:1], s[2:3]
	s_cbranch_execz .LBB43_11
; %bb.10:                               ;   in Loop: Header=BB43_3 Depth=1
	v_mov_b32_e32 v0, s19
	v_add_co_u32_e32 v7, vcc, s18, v10
	v_addc_co_u32_e32 v0, vcc, v0, v11, vcc
	v_mov_b32_e32 v9, s29
	v_add_co_u32_e32 v10, vcc, s28, v7
	v_addc_co_u32_e32 v11, vcc, v0, v9, vcc
	;; [unrolled: 3-line block ×3, first 2 shown]
	global_load_dword v7, v[12:13], off offset:64
	global_load_dword v9, v[10:11], off offset:64
.LBB43_11:                              ;   in Loop: Header=BB43_3 Depth=1
	s_or_b64 exec, exec, s[0:1]
	s_waitcnt vmcnt(1)
	v_and_b32_e32 v0, 0xffff, v2
	s_waitcnt vmcnt(0)
	v_lshl_or_b32 v10, v4, 16, v0
	v_lshrrev_b32_e32 v0, 16, v2
	v_and_or_b32 v12, v4, s21, v0
	v_and_b32_e32 v0, 0xffff, v3
	v_lshl_or_b32 v14, v5, 16, v0
	v_lshrrev_b32_e32 v0, 16, v3
	v_and_or_b32 v16, v5, s21, v0
	v_and_b32_e32 v0, 0xffff, v6
	;; [unrolled: 4-line block ×3, first 2 shown]
	s_mul_i32 s0, s38, s43
	v_lshl_or_b32 v15, v9, 16, v0
	ds_write_b128 v22, v[10:13]
	v_add_u32_e32 v0, s0, v24
	v_mov_b32_e32 v10, s33
	v_mad_u64_u32 v[10:11], s[0:1], s5, v10, v[0:1]
	v_lshl_or_b32 v18, s42, 5, v20
	v_mov_b32_e32 v19, v1
	v_mad_u64_u32 v[27:28], s[0:1], v10, s4, v[18:19]
	v_lshrrev_b32_e32 v10, 16, v7
	v_and_or_b32 v17, v9, s21, v10
	v_mov_b32_e32 v10, v28
	v_mad_u64_u32 v[10:11], s[0:1], v11, s4, v[10:11]
	ds_write_b128 v22, v[14:17] offset:4352
	s_waitcnt lgkmcnt(0)
	s_barrier
	v_mov_b32_e32 v28, v10
	ds_read2_b32 v[16:17], v23 offset0:1 offset1:3
	ds_read_b128 v[10:13], v23 offset:4352
	v_cmp_gt_u32_e32 vcc, s4, v18
	v_cmp_gt_u32_e64 s[2:3], s9, v0
	v_lshlrev_b64 v[14:15], 2, v[27:28]
	s_and_b64 s[0:1], vcc, s[2:3]
	s_and_saveexec_b64 s[36:37], s[0:1]
	s_cbranch_execz .LBB43_13
; %bb.12:                               ;   in Loop: Header=BB43_3 Depth=1
	ds_read2_b32 v[29:30], v23 offset1:2
	v_mov_b32_e32 v19, s17
	v_add_co_u32_e64 v27, s[0:1], s16, v14
	v_addc_co_u32_e64 v28, s[0:1], v19, v15, s[0:1]
	v_mov_b32_e32 v19, s35
	v_add_co_u32_e64 v31, s[0:1], s34, v27
	v_addc_co_u32_e64 v32, s[0:1], v28, v19, s[0:1]
	s_waitcnt lgkmcnt(0)
	global_store_dword v[27:28], v29, off
	global_store_dword v[31:32], v30, off
.LBB43_13:                              ;   in Loop: Header=BB43_3 Depth=1
	s_or_b64 exec, exec, s[36:37]
	v_or_b32_e32 v18, 16, v18
	v_cmp_gt_u32_e64 s[0:1], s4, v18
	s_and_b64 s[2:3], s[0:1], s[2:3]
	s_and_saveexec_b64 s[36:37], s[2:3]
	s_cbranch_execz .LBB43_15
; %bb.14:                               ;   in Loop: Header=BB43_3 Depth=1
	v_mov_b32_e32 v19, s17
	v_add_co_u32_e64 v18, s[2:3], s16, v14
	v_addc_co_u32_e64 v19, s[2:3], v19, v15, s[2:3]
	v_mov_b32_e32 v28, s35
	v_add_co_u32_e64 v27, s[2:3], s34, v18
	v_addc_co_u32_e64 v28, s[2:3], v19, v28, s[2:3]
	s_waitcnt lgkmcnt(1)
	global_store_dword v[18:19], v16, off offset:64
	global_store_dword v[27:28], v17, off offset:64
.LBB43_15:                              ;   in Loop: Header=BB43_3 Depth=1
	s_or_b64 exec, exec, s[36:37]
	v_add_u32_e32 v0, 32, v0
	v_cmp_gt_u32_e64 s[2:3], s9, v0
	s_and_b64 s[42:43], vcc, s[2:3]
	s_and_saveexec_b64 s[36:37], s[42:43]
	s_cbranch_execz .LBB43_17
; %bb.16:                               ;   in Loop: Header=BB43_3 Depth=1
	v_mov_b32_e32 v0, s17
	v_add_co_u32_e32 v18, vcc, s16, v14
	v_addc_co_u32_e32 v0, vcc, v0, v15, vcc
	s_lshl_b64 s[42:43], s[24:25], 2
	s_waitcnt lgkmcnt(1)
	v_mov_b32_e32 v17, s43
	v_add_co_u32_e32 v16, vcc, s42, v18
	v_addc_co_u32_e32 v17, vcc, v0, v17, vcc
	s_lshl_b64 s[42:43], s[22:23], 2
	v_mov_b32_e32 v19, s43
	v_add_co_u32_e32 v18, vcc, s42, v18
	v_addc_co_u32_e32 v19, vcc, v0, v19, vcc
	s_waitcnt lgkmcnt(0)
	global_store_dword v[18:19], v10, off
	global_store_dword v[16:17], v12, off
.LBB43_17:                              ;   in Loop: Header=BB43_3 Depth=1
	s_or_b64 exec, exec, s[36:37]
	s_and_b64 s[2:3], s[0:1], s[2:3]
	s_and_saveexec_b64 s[0:1], s[2:3]
	s_cbranch_execz .LBB43_2
; %bb.18:                               ;   in Loop: Header=BB43_3 Depth=1
	v_mov_b32_e32 v0, s17
	s_waitcnt lgkmcnt(0)
	v_add_co_u32_e32 v10, vcc, s16, v14
	v_addc_co_u32_e32 v0, vcc, v0, v15, vcc
	s_lshl_b64 s[2:3], s[24:25], 2
	v_mov_b32_e32 v12, s3
	v_add_co_u32_e32 v14, vcc, s2, v10
	v_addc_co_u32_e32 v15, vcc, v0, v12, vcc
	s_lshl_b64 s[2:3], s[22:23], 2
	v_mov_b32_e32 v12, s3
	v_add_co_u32_e32 v16, vcc, s2, v10
	v_addc_co_u32_e32 v17, vcc, v0, v12, vcc
	global_store_dword v[16:17], v11, off offset:64
	global_store_dword v[14:15], v13, off offset:64
	s_branch .LBB43_2
.LBB43_19:
	s_endpgm
	.section	.rodata,"a",@progbits
	.p2align	6, 0x0
	.amdhsa_kernel batched_transpose_64x64_pack_4x4_ediv_2x2_half
		.amdhsa_group_segment_fixed_size 8704
		.amdhsa_private_segment_fixed_size 0
		.amdhsa_kernarg_size 48
		.amdhsa_user_sgpr_count 6
		.amdhsa_user_sgpr_private_segment_buffer 1
		.amdhsa_user_sgpr_dispatch_ptr 0
		.amdhsa_user_sgpr_queue_ptr 0
		.amdhsa_user_sgpr_kernarg_segment_ptr 1
		.amdhsa_user_sgpr_dispatch_id 0
		.amdhsa_user_sgpr_flat_scratch_init 0
		.amdhsa_user_sgpr_private_segment_size 0
		.amdhsa_uses_dynamic_stack 0
		.amdhsa_system_sgpr_private_segment_wavefront_offset 0
		.amdhsa_system_sgpr_workgroup_id_x 1
		.amdhsa_system_sgpr_workgroup_id_y 0
		.amdhsa_system_sgpr_workgroup_id_z 0
		.amdhsa_system_sgpr_workgroup_info 0
		.amdhsa_system_vgpr_workitem_id 0
		.amdhsa_next_free_vgpr 33
		.amdhsa_next_free_sgpr 77
		.amdhsa_reserve_vcc 1
		.amdhsa_reserve_flat_scratch 0
		.amdhsa_float_round_mode_32 0
		.amdhsa_float_round_mode_16_64 0
		.amdhsa_float_denorm_mode_32 3
		.amdhsa_float_denorm_mode_16_64 3
		.amdhsa_dx10_clamp 1
		.amdhsa_ieee_mode 1
		.amdhsa_fp16_overflow 0
		.amdhsa_exception_fp_ieee_invalid_op 0
		.amdhsa_exception_fp_denorm_src 0
		.amdhsa_exception_fp_ieee_div_zero 0
		.amdhsa_exception_fp_ieee_overflow 0
		.amdhsa_exception_fp_ieee_underflow 0
		.amdhsa_exception_fp_ieee_inexact 0
		.amdhsa_exception_int_div_zero 0
	.end_amdhsa_kernel
	.text
.Lfunc_end43:
	.size	batched_transpose_64x64_pack_4x4_ediv_2x2_half, .Lfunc_end43-batched_transpose_64x64_pack_4x4_ediv_2x2_half
                                        ; -- End function
	.set batched_transpose_64x64_pack_4x4_ediv_2x2_half.num_vgpr, 33
	.set batched_transpose_64x64_pack_4x4_ediv_2x2_half.num_agpr, 0
	.set batched_transpose_64x64_pack_4x4_ediv_2x2_half.numbered_sgpr, 46
	.set batched_transpose_64x64_pack_4x4_ediv_2x2_half.num_named_barrier, 0
	.set batched_transpose_64x64_pack_4x4_ediv_2x2_half.private_seg_size, 0
	.set batched_transpose_64x64_pack_4x4_ediv_2x2_half.uses_vcc, 1
	.set batched_transpose_64x64_pack_4x4_ediv_2x2_half.uses_flat_scratch, 0
	.set batched_transpose_64x64_pack_4x4_ediv_2x2_half.has_dyn_sized_stack, 0
	.set batched_transpose_64x64_pack_4x4_ediv_2x2_half.has_recursion, 0
	.set batched_transpose_64x64_pack_4x4_ediv_2x2_half.has_indirect_call, 0
	.section	.AMDGPU.csdata,"",@progbits
; Kernel info:
; codeLenInByte = 1320
; TotalNumSgprs: 50
; NumVgprs: 33
; ScratchSize: 0
; MemoryBound: 0
; FloatMode: 240
; IeeeMode: 1
; LDSByteSize: 8704 bytes/workgroup (compile time only)
; SGPRBlocks: 10
; VGPRBlocks: 8
; NumSGPRsForWavesPerEU: 81
; NumVGPRsForWavesPerEU: 33
; Occupancy: 7
; WaveLimiterHint : 0
; COMPUTE_PGM_RSRC2:SCRATCH_EN: 0
; COMPUTE_PGM_RSRC2:USER_SGPR: 6
; COMPUTE_PGM_RSRC2:TRAP_HANDLER: 0
; COMPUTE_PGM_RSRC2:TGID_X_EN: 1
; COMPUTE_PGM_RSRC2:TGID_Y_EN: 0
; COMPUTE_PGM_RSRC2:TGID_Z_EN: 0
; COMPUTE_PGM_RSRC2:TIDIG_COMP_CNT: 0
	.section	.AMDGPU.gpr_maximums,"",@progbits
	.set amdgpu.max_num_vgpr, 0
	.set amdgpu.max_num_agpr, 0
	.set amdgpu.max_num_sgpr, 0
	.section	.AMDGPU.csdata,"",@progbits
	.type	__hip_cuid_63799d8458b75528,@object ; @__hip_cuid_63799d8458b75528
	.section	.bss,"aw",@nobits
	.globl	__hip_cuid_63799d8458b75528
__hip_cuid_63799d8458b75528:
	.byte	0                               ; 0x0
	.size	__hip_cuid_63799d8458b75528, 1

	.ident	"AMD clang version 22.0.0git (https://github.com/RadeonOpenCompute/llvm-project roc-7.2.4 26084 f58b06dce1f9c15707c5f808fd002e18c2accf7e)"
	.section	".note.GNU-stack","",@progbits
	.addrsig
	.addrsig_sym __hip_cuid_63799d8458b75528
	.amdgpu_metadata
---
amdhsa.kernels:
  - .args:
      - .address_space:  global
        .offset:         0
        .size:           8
        .value_kind:     global_buffer
      - .address_space:  global
        .offset:         8
        .size:           8
        .value_kind:     global_buffer
      - .offset:         16
        .size:           4
        .value_kind:     by_value
      - .offset:         20
        .size:           4
        .value_kind:     by_value
      - .offset:         24
        .size:           4
        .value_kind:     by_value
      - .offset:         28
        .size:           4
        .value_kind:     by_value
      - .offset:         32
        .size:           4
        .value_kind:     by_value
      - .offset:         36
        .size:           4
        .value_kind:     by_value
      - .offset:         40
        .size:           4
        .value_kind:     by_value
      - .offset:         44
        .size:           4
        .value_kind:     by_value
    .group_segment_fixed_size: 1088
    .kernarg_segment_align: 8
    .kernarg_segment_size: 48
    .language:       OpenCL C
    .language_version:
      - 2
      - 0
    .max_flat_workgroup_size: 256
    .name:           batched_transpose_16x16_dword
    .private_segment_fixed_size: 0
    .sgpr_count:     30
    .sgpr_spill_count: 0
    .symbol:         batched_transpose_16x16_dword.kd
    .uniform_work_group_size: 1
    .uses_dynamic_stack: false
    .vgpr_count:     13
    .vgpr_spill_count: 0
    .wavefront_size: 64
  - .args:
      - .address_space:  global
        .offset:         0
        .size:           8
        .value_kind:     global_buffer
      - .address_space:  global
        .offset:         8
        .size:           8
        .value_kind:     global_buffer
      - .offset:         16
        .size:           4
        .value_kind:     by_value
      - .offset:         20
        .size:           4
        .value_kind:     by_value
      - .offset:         24
        .size:           4
        .value_kind:     by_value
      - .offset:         28
        .size:           4
        .value_kind:     by_value
      - .offset:         32
        .size:           4
        .value_kind:     by_value
      - .offset:         36
        .size:           4
        .value_kind:     by_value
      - .offset:         40
        .size:           4
        .value_kind:     by_value
      - .offset:         44
        .size:           4
        .value_kind:     by_value
    .group_segment_fixed_size: 576
    .kernarg_segment_align: 8
    .kernarg_segment_size: 48
    .language:       OpenCL C
    .language_version:
      - 2
      - 0
    .max_flat_workgroup_size: 256
    .name:           batched_transpose_16x16_half
    .private_segment_fixed_size: 0
    .sgpr_count:     30
    .sgpr_spill_count: 0
    .symbol:         batched_transpose_16x16_half.kd
    .uniform_work_group_size: 1
    .uses_dynamic_stack: false
    .vgpr_count:     13
    .vgpr_spill_count: 0
    .wavefront_size: 64
  - .args:
      - .address_space:  global
        .offset:         0
        .size:           8
        .value_kind:     global_buffer
      - .address_space:  global
        .offset:         8
        .size:           8
        .value_kind:     global_buffer
      - .offset:         16
        .size:           4
        .value_kind:     by_value
      - .offset:         20
        .size:           4
        .value_kind:     by_value
      - .offset:         24
        .size:           4
        .value_kind:     by_value
      - .offset:         28
        .size:           4
        .value_kind:     by_value
      - .offset:         32
        .size:           4
        .value_kind:     by_value
      - .offset:         36
        .size:           4
        .value_kind:     by_value
      - .offset:         40
        .size:           4
        .value_kind:     by_value
      - .offset:         44
        .size:           4
        .value_kind:     by_value
    .group_segment_fixed_size: 320
    .kernarg_segment_align: 8
    .kernarg_segment_size: 48
    .language:       OpenCL C
    .language_version:
      - 2
      - 0
    .max_flat_workgroup_size: 256
    .name:           batched_transpose_16x16_byte
    .private_segment_fixed_size: 0
    .sgpr_count:     30
    .sgpr_spill_count: 0
    .symbol:         batched_transpose_16x16_byte.kd
    .uniform_work_group_size: 1
    .uses_dynamic_stack: false
    .vgpr_count:     12
    .vgpr_spill_count: 0
    .wavefront_size: 64
  - .args:
      - .address_space:  global
        .offset:         0
        .size:           8
        .value_kind:     global_buffer
      - .address_space:  global
        .offset:         8
        .size:           8
        .value_kind:     global_buffer
      - .offset:         16
        .size:           4
        .value_kind:     by_value
      - .offset:         20
        .size:           4
        .value_kind:     by_value
      - .offset:         24
        .size:           4
        .value_kind:     by_value
      - .offset:         28
        .size:           4
        .value_kind:     by_value
      - .offset:         32
        .size:           4
        .value_kind:     by_value
      - .offset:         36
        .size:           4
        .value_kind:     by_value
      - .offset:         40
        .size:           4
        .value_kind:     by_value
      - .offset:         44
        .size:           4
        .value_kind:     by_value
    .group_segment_fixed_size: 2176
    .kernarg_segment_align: 8
    .kernarg_segment_size: 48
    .language:       OpenCL C
    .language_version:
      - 2
      - 0
    .max_flat_workgroup_size: 256
    .name:           batched_transpose_32x16_dword
    .private_segment_fixed_size: 0
    .sgpr_count:     31
    .sgpr_spill_count: 0
    .symbol:         batched_transpose_32x16_dword.kd
    .uniform_work_group_size: 1
    .uses_dynamic_stack: false
    .vgpr_count:     16
    .vgpr_spill_count: 0
    .wavefront_size: 64
  - .args:
      - .address_space:  global
        .offset:         0
        .size:           8
        .value_kind:     global_buffer
      - .address_space:  global
        .offset:         8
        .size:           8
        .value_kind:     global_buffer
      - .offset:         16
        .size:           4
        .value_kind:     by_value
      - .offset:         20
        .size:           4
        .value_kind:     by_value
      - .offset:         24
        .size:           4
        .value_kind:     by_value
      - .offset:         28
        .size:           4
        .value_kind:     by_value
      - .offset:         32
        .size:           4
        .value_kind:     by_value
      - .offset:         36
        .size:           4
        .value_kind:     by_value
      - .offset:         40
        .size:           4
        .value_kind:     by_value
      - .offset:         44
        .size:           4
        .value_kind:     by_value
    .group_segment_fixed_size: 1152
    .kernarg_segment_align: 8
    .kernarg_segment_size: 48
    .language:       OpenCL C
    .language_version:
      - 2
      - 0
    .max_flat_workgroup_size: 256
    .name:           batched_transpose_32x16_half
    .private_segment_fixed_size: 0
    .sgpr_count:     31
    .sgpr_spill_count: 0
    .symbol:         batched_transpose_32x16_half.kd
    .uniform_work_group_size: 1
    .uses_dynamic_stack: false
    .vgpr_count:     15
    .vgpr_spill_count: 0
    .wavefront_size: 64
  - .args:
      - .address_space:  global
        .offset:         0
        .size:           8
        .value_kind:     global_buffer
      - .address_space:  global
        .offset:         8
        .size:           8
        .value_kind:     global_buffer
      - .offset:         16
        .size:           4
        .value_kind:     by_value
      - .offset:         20
        .size:           4
        .value_kind:     by_value
      - .offset:         24
        .size:           4
        .value_kind:     by_value
      - .offset:         28
        .size:           4
        .value_kind:     by_value
      - .offset:         32
        .size:           4
        .value_kind:     by_value
      - .offset:         36
        .size:           4
        .value_kind:     by_value
      - .offset:         40
        .size:           4
        .value_kind:     by_value
      - .offset:         44
        .size:           4
        .value_kind:     by_value
    .group_segment_fixed_size: 640
    .kernarg_segment_align: 8
    .kernarg_segment_size: 48
    .language:       OpenCL C
    .language_version:
      - 2
      - 0
    .max_flat_workgroup_size: 256
    .name:           batched_transpose_32x16_byte
    .private_segment_fixed_size: 0
    .sgpr_count:     31
    .sgpr_spill_count: 0
    .symbol:         batched_transpose_32x16_byte.kd
    .uniform_work_group_size: 1
    .uses_dynamic_stack: false
    .vgpr_count:     17
    .vgpr_spill_count: 0
    .wavefront_size: 64
  - .args:
      - .address_space:  global
        .offset:         0
        .size:           8
        .value_kind:     global_buffer
      - .address_space:  global
        .offset:         8
        .size:           8
        .value_kind:     global_buffer
      - .offset:         16
        .size:           4
        .value_kind:     by_value
      - .offset:         20
        .size:           4
        .value_kind:     by_value
      - .offset:         24
        .size:           4
        .value_kind:     by_value
      - .offset:         28
        .size:           4
        .value_kind:     by_value
      - .offset:         32
        .size:           4
        .value_kind:     by_value
      - .offset:         36
        .size:           4
        .value_kind:     by_value
      - .offset:         40
        .size:           4
        .value_kind:     by_value
      - .offset:         44
        .size:           4
        .value_kind:     by_value
    .group_segment_fixed_size: 2176
    .kernarg_segment_align: 8
    .kernarg_segment_size: 48
    .language:       OpenCL C
    .language_version:
      - 2
      - 0
    .max_flat_workgroup_size: 256
    .name:           batched_transpose_16x32_dword
    .private_segment_fixed_size: 0
    .sgpr_count:     31
    .sgpr_spill_count: 0
    .symbol:         batched_transpose_16x32_dword.kd
    .uniform_work_group_size: 1
    .uses_dynamic_stack: false
    .vgpr_count:     17
    .vgpr_spill_count: 0
    .wavefront_size: 64
  - .args:
      - .address_space:  global
        .offset:         0
        .size:           8
        .value_kind:     global_buffer
      - .address_space:  global
        .offset:         8
        .size:           8
        .value_kind:     global_buffer
      - .offset:         16
        .size:           4
        .value_kind:     by_value
      - .offset:         20
        .size:           4
        .value_kind:     by_value
      - .offset:         24
        .size:           4
        .value_kind:     by_value
      - .offset:         28
        .size:           4
        .value_kind:     by_value
      - .offset:         32
        .size:           4
        .value_kind:     by_value
      - .offset:         36
        .size:           4
        .value_kind:     by_value
      - .offset:         40
        .size:           4
        .value_kind:     by_value
      - .offset:         44
        .size:           4
        .value_kind:     by_value
    .group_segment_fixed_size: 1152
    .kernarg_segment_align: 8
    .kernarg_segment_size: 48
    .language:       OpenCL C
    .language_version:
      - 2
      - 0
    .max_flat_workgroup_size: 256
    .name:           batched_transpose_16x32_half
    .private_segment_fixed_size: 0
    .sgpr_count:     31
    .sgpr_spill_count: 0
    .symbol:         batched_transpose_16x32_half.kd
    .uniform_work_group_size: 1
    .uses_dynamic_stack: false
    .vgpr_count:     16
    .vgpr_spill_count: 0
    .wavefront_size: 64
  - .args:
      - .address_space:  global
        .offset:         0
        .size:           8
        .value_kind:     global_buffer
      - .address_space:  global
        .offset:         8
        .size:           8
        .value_kind:     global_buffer
      - .offset:         16
        .size:           4
        .value_kind:     by_value
      - .offset:         20
        .size:           4
        .value_kind:     by_value
      - .offset:         24
        .size:           4
        .value_kind:     by_value
      - .offset:         28
        .size:           4
        .value_kind:     by_value
      - .offset:         32
        .size:           4
        .value_kind:     by_value
      - .offset:         36
        .size:           4
        .value_kind:     by_value
      - .offset:         40
        .size:           4
        .value_kind:     by_value
      - .offset:         44
        .size:           4
        .value_kind:     by_value
    .group_segment_fixed_size: 640
    .kernarg_segment_align: 8
    .kernarg_segment_size: 48
    .language:       OpenCL C
    .language_version:
      - 2
      - 0
    .max_flat_workgroup_size: 256
    .name:           batched_transpose_16x32_byte
    .private_segment_fixed_size: 0
    .sgpr_count:     31
    .sgpr_spill_count: 0
    .symbol:         batched_transpose_16x32_byte.kd
    .uniform_work_group_size: 1
    .uses_dynamic_stack: false
    .vgpr_count:     17
    .vgpr_spill_count: 0
    .wavefront_size: 64
  - .args:
      - .address_space:  global
        .offset:         0
        .size:           8
        .value_kind:     global_buffer
      - .address_space:  global
        .offset:         8
        .size:           8
        .value_kind:     global_buffer
      - .offset:         16
        .size:           4
        .value_kind:     by_value
      - .offset:         20
        .size:           4
        .value_kind:     by_value
      - .offset:         24
        .size:           4
        .value_kind:     by_value
      - .offset:         28
        .size:           4
        .value_kind:     by_value
      - .offset:         32
        .size:           4
        .value_kind:     by_value
      - .offset:         36
        .size:           4
        .value_kind:     by_value
      - .offset:         40
        .size:           4
        .value_kind:     by_value
      - .offset:         44
        .size:           4
        .value_kind:     by_value
    .group_segment_fixed_size: 4352
    .kernarg_segment_align: 8
    .kernarg_segment_size: 48
    .language:       OpenCL C
    .language_version:
      - 2
      - 0
    .max_flat_workgroup_size: 256
    .name:           batched_transpose_32x32_dword
    .private_segment_fixed_size: 0
    .sgpr_count:     40
    .sgpr_spill_count: 0
    .symbol:         batched_transpose_32x32_dword.kd
    .uniform_work_group_size: 1
    .uses_dynamic_stack: false
    .vgpr_count:     21
    .vgpr_spill_count: 0
    .wavefront_size: 64
  - .args:
      - .address_space:  global
        .offset:         0
        .size:           8
        .value_kind:     global_buffer
      - .address_space:  global
        .offset:         8
        .size:           8
        .value_kind:     global_buffer
      - .offset:         16
        .size:           4
        .value_kind:     by_value
      - .offset:         20
        .size:           4
        .value_kind:     by_value
      - .offset:         24
        .size:           4
        .value_kind:     by_value
      - .offset:         28
        .size:           4
        .value_kind:     by_value
      - .offset:         32
        .size:           4
        .value_kind:     by_value
      - .offset:         36
        .size:           4
        .value_kind:     by_value
      - .offset:         40
        .size:           4
        .value_kind:     by_value
      - .offset:         44
        .size:           4
        .value_kind:     by_value
    .group_segment_fixed_size: 2176
    .kernarg_segment_align: 8
    .kernarg_segment_size: 48
    .language:       OpenCL C
    .language_version:
      - 2
      - 0
    .max_flat_workgroup_size: 256
    .name:           batched_transpose_32x32_half
    .private_segment_fixed_size: 0
    .sgpr_count:     40
    .sgpr_spill_count: 0
    .symbol:         batched_transpose_32x32_half.kd
    .uniform_work_group_size: 1
    .uses_dynamic_stack: false
    .vgpr_count:     21
    .vgpr_spill_count: 0
    .wavefront_size: 64
  - .args:
      - .address_space:  global
        .offset:         0
        .size:           8
        .value_kind:     global_buffer
      - .address_space:  global
        .offset:         8
        .size:           8
        .value_kind:     global_buffer
      - .offset:         16
        .size:           4
        .value_kind:     by_value
      - .offset:         20
        .size:           4
        .value_kind:     by_value
      - .offset:         24
        .size:           4
        .value_kind:     by_value
      - .offset:         28
        .size:           4
        .value_kind:     by_value
      - .offset:         32
        .size:           4
        .value_kind:     by_value
      - .offset:         36
        .size:           4
        .value_kind:     by_value
      - .offset:         40
        .size:           4
        .value_kind:     by_value
      - .offset:         44
        .size:           4
        .value_kind:     by_value
    .group_segment_fixed_size: 1088
    .kernarg_segment_align: 8
    .kernarg_segment_size: 48
    .language:       OpenCL C
    .language_version:
      - 2
      - 0
    .max_flat_workgroup_size: 256
    .name:           batched_transpose_32x32_byte
    .private_segment_fixed_size: 0
    .sgpr_count:     40
    .sgpr_spill_count: 0
    .symbol:         batched_transpose_32x32_byte.kd
    .uniform_work_group_size: 1
    .uses_dynamic_stack: false
    .vgpr_count:     20
    .vgpr_spill_count: 0
    .wavefront_size: 64
  - .args:
      - .address_space:  global
        .offset:         0
        .size:           8
        .value_kind:     global_buffer
      - .address_space:  global
        .offset:         8
        .size:           8
        .value_kind:     global_buffer
      - .offset:         16
        .size:           4
        .value_kind:     by_value
      - .offset:         20
        .size:           4
        .value_kind:     by_value
      - .offset:         24
        .size:           4
        .value_kind:     by_value
      - .offset:         28
        .size:           4
        .value_kind:     by_value
      - .offset:         32
        .size:           4
        .value_kind:     by_value
      - .offset:         36
        .size:           4
        .value_kind:     by_value
      - .offset:         40
        .size:           4
        .value_kind:     by_value
      - .offset:         44
        .size:           4
        .value_kind:     by_value
    .group_segment_fixed_size: 0
    .kernarg_segment_align: 8
    .kernarg_segment_size: 48
    .language:       OpenCL C
    .language_version:
      - 2
      - 0
    .max_flat_workgroup_size: 256
    .name:           batched_transpose_4x256_dword
    .private_segment_fixed_size: 0
    .sgpr_count:     43
    .sgpr_spill_count: 0
    .symbol:         batched_transpose_4x256_dword.kd
    .uniform_work_group_size: 1
    .uses_dynamic_stack: false
    .vgpr_count:     12
    .vgpr_spill_count: 0
    .wavefront_size: 64
  - .args:
      - .address_space:  global
        .offset:         0
        .size:           8
        .value_kind:     global_buffer
      - .address_space:  global
        .offset:         8
        .size:           8
        .value_kind:     global_buffer
      - .offset:         16
        .size:           4
        .value_kind:     by_value
      - .offset:         20
        .size:           4
        .value_kind:     by_value
      - .offset:         24
        .size:           4
        .value_kind:     by_value
      - .offset:         28
        .size:           4
        .value_kind:     by_value
      - .offset:         32
        .size:           4
        .value_kind:     by_value
      - .offset:         36
        .size:           4
        .value_kind:     by_value
      - .offset:         40
        .size:           4
        .value_kind:     by_value
      - .offset:         44
        .size:           4
        .value_kind:     by_value
    .group_segment_fixed_size: 0
    .kernarg_segment_align: 8
    .kernarg_segment_size: 48
    .language:       OpenCL C
    .language_version:
      - 2
      - 0
    .max_flat_workgroup_size: 256
    .name:           batched_transpose_4x256_half
    .private_segment_fixed_size: 0
    .sgpr_count:     43
    .sgpr_spill_count: 0
    .symbol:         batched_transpose_4x256_half.kd
    .uniform_work_group_size: 1
    .uses_dynamic_stack: false
    .vgpr_count:     12
    .vgpr_spill_count: 0
    .wavefront_size: 64
  - .args:
      - .address_space:  global
        .offset:         0
        .size:           8
        .value_kind:     global_buffer
      - .address_space:  global
        .offset:         8
        .size:           8
        .value_kind:     global_buffer
      - .offset:         16
        .size:           4
        .value_kind:     by_value
      - .offset:         20
        .size:           4
        .value_kind:     by_value
      - .offset:         24
        .size:           4
        .value_kind:     by_value
      - .offset:         28
        .size:           4
        .value_kind:     by_value
      - .offset:         32
        .size:           4
        .value_kind:     by_value
      - .offset:         36
        .size:           4
        .value_kind:     by_value
      - .offset:         40
        .size:           4
        .value_kind:     by_value
      - .offset:         44
        .size:           4
        .value_kind:     by_value
    .group_segment_fixed_size: 0
    .kernarg_segment_align: 8
    .kernarg_segment_size: 48
    .language:       OpenCL C
    .language_version:
      - 2
      - 0
    .max_flat_workgroup_size: 256
    .name:           batched_transpose_4x256_byte
    .private_segment_fixed_size: 0
    .sgpr_count:     42
    .sgpr_spill_count: 0
    .symbol:         batched_transpose_4x256_byte.kd
    .uniform_work_group_size: 1
    .uses_dynamic_stack: false
    .vgpr_count:     13
    .vgpr_spill_count: 0
    .wavefront_size: 64
  - .args:
      - .address_space:  global
        .offset:         0
        .size:           8
        .value_kind:     global_buffer
      - .address_space:  global
        .offset:         8
        .size:           8
        .value_kind:     global_buffer
      - .offset:         16
        .size:           4
        .value_kind:     by_value
      - .offset:         20
        .size:           4
        .value_kind:     by_value
      - .offset:         24
        .size:           4
        .value_kind:     by_value
      - .offset:         28
        .size:           4
        .value_kind:     by_value
      - .offset:         32
        .size:           4
        .value_kind:     by_value
      - .offset:         36
        .size:           4
        .value_kind:     by_value
      - .offset:         40
        .size:           4
        .value_kind:     by_value
      - .offset:         44
        .size:           4
        .value_kind:     by_value
    .group_segment_fixed_size: 0
    .kernarg_segment_align: 8
    .kernarg_segment_size: 48
    .language:       OpenCL C
    .language_version:
      - 2
      - 0
    .max_flat_workgroup_size: 256
    .name:           batched_transpose_256x4_dword
    .private_segment_fixed_size: 0
    .sgpr_count:     41
    .sgpr_spill_count: 0
    .symbol:         batched_transpose_256x4_dword.kd
    .uniform_work_group_size: 1
    .uses_dynamic_stack: false
    .vgpr_count:     12
    .vgpr_spill_count: 0
    .wavefront_size: 64
  - .args:
      - .address_space:  global
        .offset:         0
        .size:           8
        .value_kind:     global_buffer
      - .address_space:  global
        .offset:         8
        .size:           8
        .value_kind:     global_buffer
      - .offset:         16
        .size:           4
        .value_kind:     by_value
      - .offset:         20
        .size:           4
        .value_kind:     by_value
      - .offset:         24
        .size:           4
        .value_kind:     by_value
      - .offset:         28
        .size:           4
        .value_kind:     by_value
      - .offset:         32
        .size:           4
        .value_kind:     by_value
      - .offset:         36
        .size:           4
        .value_kind:     by_value
      - .offset:         40
        .size:           4
        .value_kind:     by_value
      - .offset:         44
        .size:           4
        .value_kind:     by_value
    .group_segment_fixed_size: 0
    .kernarg_segment_align: 8
    .kernarg_segment_size: 48
    .language:       OpenCL C
    .language_version:
      - 2
      - 0
    .max_flat_workgroup_size: 256
    .name:           batched_transpose_256x4_half
    .private_segment_fixed_size: 0
    .sgpr_count:     41
    .sgpr_spill_count: 0
    .symbol:         batched_transpose_256x4_half.kd
    .uniform_work_group_size: 1
    .uses_dynamic_stack: false
    .vgpr_count:     12
    .vgpr_spill_count: 0
    .wavefront_size: 64
  - .args:
      - .address_space:  global
        .offset:         0
        .size:           8
        .value_kind:     global_buffer
      - .address_space:  global
        .offset:         8
        .size:           8
        .value_kind:     global_buffer
      - .offset:         16
        .size:           4
        .value_kind:     by_value
      - .offset:         20
        .size:           4
        .value_kind:     by_value
      - .offset:         24
        .size:           4
        .value_kind:     by_value
      - .offset:         28
        .size:           4
        .value_kind:     by_value
      - .offset:         32
        .size:           4
        .value_kind:     by_value
      - .offset:         36
        .size:           4
        .value_kind:     by_value
      - .offset:         40
        .size:           4
        .value_kind:     by_value
      - .offset:         44
        .size:           4
        .value_kind:     by_value
    .group_segment_fixed_size: 0
    .kernarg_segment_align: 8
    .kernarg_segment_size: 48
    .language:       OpenCL C
    .language_version:
      - 2
      - 0
    .max_flat_workgroup_size: 256
    .name:           batched_transpose_256x4_byte
    .private_segment_fixed_size: 0
    .sgpr_count:     41
    .sgpr_spill_count: 0
    .symbol:         batched_transpose_256x4_byte.kd
    .uniform_work_group_size: 1
    .uses_dynamic_stack: false
    .vgpr_count:     13
    .vgpr_spill_count: 0
    .wavefront_size: 64
  - .args:
      - .address_space:  global
        .offset:         0
        .size:           8
        .value_kind:     global_buffer
      - .address_space:  global
        .offset:         8
        .size:           8
        .value_kind:     global_buffer
      - .offset:         16
        .size:           4
        .value_kind:     by_value
      - .offset:         20
        .size:           4
        .value_kind:     by_value
      - .offset:         24
        .size:           4
        .value_kind:     by_value
      - .offset:         28
        .size:           4
        .value_kind:     by_value
      - .offset:         32
        .size:           4
        .value_kind:     by_value
      - .offset:         36
        .size:           4
        .value_kind:     by_value
      - .offset:         40
        .size:           4
        .value_kind:     by_value
      - .offset:         44
        .size:           4
        .value_kind:     by_value
    .group_segment_fixed_size: 0
    .kernarg_segment_align: 8
    .kernarg_segment_size: 48
    .language:       OpenCL C
    .language_version:
      - 2
      - 0
    .max_flat_workgroup_size: 256
    .name:           batched_transpose_4x128_dword
    .private_segment_fixed_size: 0
    .sgpr_count:     30
    .sgpr_spill_count: 0
    .symbol:         batched_transpose_4x128_dword.kd
    .uniform_work_group_size: 1
    .uses_dynamic_stack: false
    .vgpr_count:     13
    .vgpr_spill_count: 0
    .wavefront_size: 64
  - .args:
      - .address_space:  global
        .offset:         0
        .size:           8
        .value_kind:     global_buffer
      - .address_space:  global
        .offset:         8
        .size:           8
        .value_kind:     global_buffer
      - .offset:         16
        .size:           4
        .value_kind:     by_value
      - .offset:         20
        .size:           4
        .value_kind:     by_value
      - .offset:         24
        .size:           4
        .value_kind:     by_value
      - .offset:         28
        .size:           4
        .value_kind:     by_value
      - .offset:         32
        .size:           4
        .value_kind:     by_value
      - .offset:         36
        .size:           4
        .value_kind:     by_value
      - .offset:         40
        .size:           4
        .value_kind:     by_value
      - .offset:         44
        .size:           4
        .value_kind:     by_value
    .group_segment_fixed_size: 0
    .kernarg_segment_align: 8
    .kernarg_segment_size: 48
    .language:       OpenCL C
    .language_version:
      - 2
      - 0
    .max_flat_workgroup_size: 256
    .name:           batched_transpose_4x128_half
    .private_segment_fixed_size: 0
    .sgpr_count:     30
    .sgpr_spill_count: 0
    .symbol:         batched_transpose_4x128_half.kd
    .uniform_work_group_size: 1
    .uses_dynamic_stack: false
    .vgpr_count:     13
    .vgpr_spill_count: 0
    .wavefront_size: 64
  - .args:
      - .address_space:  global
        .offset:         0
        .size:           8
        .value_kind:     global_buffer
      - .address_space:  global
        .offset:         8
        .size:           8
        .value_kind:     global_buffer
      - .offset:         16
        .size:           4
        .value_kind:     by_value
      - .offset:         20
        .size:           4
        .value_kind:     by_value
      - .offset:         24
        .size:           4
        .value_kind:     by_value
      - .offset:         28
        .size:           4
        .value_kind:     by_value
      - .offset:         32
        .size:           4
        .value_kind:     by_value
      - .offset:         36
        .size:           4
        .value_kind:     by_value
      - .offset:         40
        .size:           4
        .value_kind:     by_value
      - .offset:         44
        .size:           4
        .value_kind:     by_value
    .group_segment_fixed_size: 0
    .kernarg_segment_align: 8
    .kernarg_segment_size: 48
    .language:       OpenCL C
    .language_version:
      - 2
      - 0
    .max_flat_workgroup_size: 256
    .name:           batched_transpose_4x128_byte
    .private_segment_fixed_size: 0
    .sgpr_count:     30
    .sgpr_spill_count: 0
    .symbol:         batched_transpose_4x128_byte.kd
    .uniform_work_group_size: 1
    .uses_dynamic_stack: false
    .vgpr_count:     13
    .vgpr_spill_count: 0
    .wavefront_size: 64
  - .args:
      - .address_space:  global
        .offset:         0
        .size:           8
        .value_kind:     global_buffer
      - .address_space:  global
        .offset:         8
        .size:           8
        .value_kind:     global_buffer
      - .offset:         16
        .size:           4
        .value_kind:     by_value
      - .offset:         20
        .size:           4
        .value_kind:     by_value
      - .offset:         24
        .size:           4
        .value_kind:     by_value
      - .offset:         28
        .size:           4
        .value_kind:     by_value
      - .offset:         32
        .size:           4
        .value_kind:     by_value
      - .offset:         36
        .size:           4
        .value_kind:     by_value
      - .offset:         40
        .size:           4
        .value_kind:     by_value
      - .offset:         44
        .size:           4
        .value_kind:     by_value
    .group_segment_fixed_size: 0
    .kernarg_segment_align: 8
    .kernarg_segment_size: 48
    .language:       OpenCL C
    .language_version:
      - 2
      - 0
    .max_flat_workgroup_size: 256
    .name:           batched_transpose_128x4_dword
    .private_segment_fixed_size: 0
    .sgpr_count:     30
    .sgpr_spill_count: 0
    .symbol:         batched_transpose_128x4_dword.kd
    .uniform_work_group_size: 1
    .uses_dynamic_stack: false
    .vgpr_count:     13
    .vgpr_spill_count: 0
    .wavefront_size: 64
  - .args:
      - .address_space:  global
        .offset:         0
        .size:           8
        .value_kind:     global_buffer
      - .address_space:  global
        .offset:         8
        .size:           8
        .value_kind:     global_buffer
      - .offset:         16
        .size:           4
        .value_kind:     by_value
      - .offset:         20
        .size:           4
        .value_kind:     by_value
      - .offset:         24
        .size:           4
        .value_kind:     by_value
      - .offset:         28
        .size:           4
        .value_kind:     by_value
      - .offset:         32
        .size:           4
        .value_kind:     by_value
      - .offset:         36
        .size:           4
        .value_kind:     by_value
      - .offset:         40
        .size:           4
        .value_kind:     by_value
      - .offset:         44
        .size:           4
        .value_kind:     by_value
    .group_segment_fixed_size: 0
    .kernarg_segment_align: 8
    .kernarg_segment_size: 48
    .language:       OpenCL C
    .language_version:
      - 2
      - 0
    .max_flat_workgroup_size: 256
    .name:           batched_transpose_128x4_half
    .private_segment_fixed_size: 0
    .sgpr_count:     30
    .sgpr_spill_count: 0
    .symbol:         batched_transpose_128x4_half.kd
    .uniform_work_group_size: 1
    .uses_dynamic_stack: false
    .vgpr_count:     13
    .vgpr_spill_count: 0
    .wavefront_size: 64
  - .args:
      - .address_space:  global
        .offset:         0
        .size:           8
        .value_kind:     global_buffer
      - .address_space:  global
        .offset:         8
        .size:           8
        .value_kind:     global_buffer
      - .offset:         16
        .size:           4
        .value_kind:     by_value
      - .offset:         20
        .size:           4
        .value_kind:     by_value
      - .offset:         24
        .size:           4
        .value_kind:     by_value
      - .offset:         28
        .size:           4
        .value_kind:     by_value
      - .offset:         32
        .size:           4
        .value_kind:     by_value
      - .offset:         36
        .size:           4
        .value_kind:     by_value
      - .offset:         40
        .size:           4
        .value_kind:     by_value
      - .offset:         44
        .size:           4
        .value_kind:     by_value
    .group_segment_fixed_size: 0
    .kernarg_segment_align: 8
    .kernarg_segment_size: 48
    .language:       OpenCL C
    .language_version:
      - 2
      - 0
    .max_flat_workgroup_size: 256
    .name:           batched_transpose_128x4_byte
    .private_segment_fixed_size: 0
    .sgpr_count:     30
    .sgpr_spill_count: 0
    .symbol:         batched_transpose_128x4_byte.kd
    .uniform_work_group_size: 1
    .uses_dynamic_stack: false
    .vgpr_count:     13
    .vgpr_spill_count: 0
    .wavefront_size: 64
  - .args:
      - .address_space:  global
        .offset:         0
        .size:           8
        .value_kind:     global_buffer
      - .address_space:  global
        .offset:         8
        .size:           8
        .value_kind:     global_buffer
      - .offset:         16
        .size:           4
        .value_kind:     by_value
      - .offset:         20
        .size:           4
        .value_kind:     by_value
      - .offset:         24
        .size:           4
        .value_kind:     by_value
      - .offset:         28
        .size:           4
        .value_kind:     by_value
      - .offset:         32
        .size:           4
        .value_kind:     by_value
      - .offset:         36
        .size:           4
        .value_kind:     by_value
      - .offset:         40
        .size:           4
        .value_kind:     by_value
      - .offset:         44
        .size:           4
        .value_kind:     by_value
    .group_segment_fixed_size: 0
    .kernarg_segment_align: 8
    .kernarg_segment_size: 48
    .language:       OpenCL C
    .language_version:
      - 2
      - 0
    .max_flat_workgroup_size: 256
    .name:           batched_transpose_4x64_dword
    .private_segment_fixed_size: 0
    .sgpr_count:     28
    .sgpr_spill_count: 0
    .symbol:         batched_transpose_4x64_dword.kd
    .uniform_work_group_size: 1
    .uses_dynamic_stack: false
    .vgpr_count:     13
    .vgpr_spill_count: 0
    .wavefront_size: 64
  - .args:
      - .address_space:  global
        .offset:         0
        .size:           8
        .value_kind:     global_buffer
      - .address_space:  global
        .offset:         8
        .size:           8
        .value_kind:     global_buffer
      - .offset:         16
        .size:           4
        .value_kind:     by_value
      - .offset:         20
        .size:           4
        .value_kind:     by_value
      - .offset:         24
        .size:           4
        .value_kind:     by_value
      - .offset:         28
        .size:           4
        .value_kind:     by_value
      - .offset:         32
        .size:           4
        .value_kind:     by_value
      - .offset:         36
        .size:           4
        .value_kind:     by_value
      - .offset:         40
        .size:           4
        .value_kind:     by_value
      - .offset:         44
        .size:           4
        .value_kind:     by_value
    .group_segment_fixed_size: 0
    .kernarg_segment_align: 8
    .kernarg_segment_size: 48
    .language:       OpenCL C
    .language_version:
      - 2
      - 0
    .max_flat_workgroup_size: 256
    .name:           batched_transpose_4x64_half
    .private_segment_fixed_size: 0
    .sgpr_count:     28
    .sgpr_spill_count: 0
    .symbol:         batched_transpose_4x64_half.kd
    .uniform_work_group_size: 1
    .uses_dynamic_stack: false
    .vgpr_count:     13
    .vgpr_spill_count: 0
    .wavefront_size: 64
  - .args:
      - .address_space:  global
        .offset:         0
        .size:           8
        .value_kind:     global_buffer
      - .address_space:  global
        .offset:         8
        .size:           8
        .value_kind:     global_buffer
      - .offset:         16
        .size:           4
        .value_kind:     by_value
      - .offset:         20
        .size:           4
        .value_kind:     by_value
      - .offset:         24
        .size:           4
        .value_kind:     by_value
      - .offset:         28
        .size:           4
        .value_kind:     by_value
      - .offset:         32
        .size:           4
        .value_kind:     by_value
      - .offset:         36
        .size:           4
        .value_kind:     by_value
      - .offset:         40
        .size:           4
        .value_kind:     by_value
      - .offset:         44
        .size:           4
        .value_kind:     by_value
    .group_segment_fixed_size: 0
    .kernarg_segment_align: 8
    .kernarg_segment_size: 48
    .language:       OpenCL C
    .language_version:
      - 2
      - 0
    .max_flat_workgroup_size: 256
    .name:           batched_transpose_4x64_byte
    .private_segment_fixed_size: 0
    .sgpr_count:     28
    .sgpr_spill_count: 0
    .symbol:         batched_transpose_4x64_byte.kd
    .uniform_work_group_size: 1
    .uses_dynamic_stack: false
    .vgpr_count:     10
    .vgpr_spill_count: 0
    .wavefront_size: 64
  - .args:
      - .address_space:  global
        .offset:         0
        .size:           8
        .value_kind:     global_buffer
      - .address_space:  global
        .offset:         8
        .size:           8
        .value_kind:     global_buffer
      - .offset:         16
        .size:           4
        .value_kind:     by_value
      - .offset:         20
        .size:           4
        .value_kind:     by_value
      - .offset:         24
        .size:           4
        .value_kind:     by_value
      - .offset:         28
        .size:           4
        .value_kind:     by_value
      - .offset:         32
        .size:           4
        .value_kind:     by_value
      - .offset:         36
        .size:           4
        .value_kind:     by_value
      - .offset:         40
        .size:           4
        .value_kind:     by_value
      - .offset:         44
        .size:           4
        .value_kind:     by_value
    .group_segment_fixed_size: 0
    .kernarg_segment_align: 8
    .kernarg_segment_size: 48
    .language:       OpenCL C
    .language_version:
      - 2
      - 0
    .max_flat_workgroup_size: 256
    .name:           batched_transpose_64x4_dword
    .private_segment_fixed_size: 0
    .sgpr_count:     28
    .sgpr_spill_count: 0
    .symbol:         batched_transpose_64x4_dword.kd
    .uniform_work_group_size: 1
    .uses_dynamic_stack: false
    .vgpr_count:     13
    .vgpr_spill_count: 0
    .wavefront_size: 64
  - .args:
      - .address_space:  global
        .offset:         0
        .size:           8
        .value_kind:     global_buffer
      - .address_space:  global
        .offset:         8
        .size:           8
        .value_kind:     global_buffer
      - .offset:         16
        .size:           4
        .value_kind:     by_value
      - .offset:         20
        .size:           4
        .value_kind:     by_value
      - .offset:         24
        .size:           4
        .value_kind:     by_value
      - .offset:         28
        .size:           4
        .value_kind:     by_value
      - .offset:         32
        .size:           4
        .value_kind:     by_value
      - .offset:         36
        .size:           4
        .value_kind:     by_value
      - .offset:         40
        .size:           4
        .value_kind:     by_value
      - .offset:         44
        .size:           4
        .value_kind:     by_value
    .group_segment_fixed_size: 0
    .kernarg_segment_align: 8
    .kernarg_segment_size: 48
    .language:       OpenCL C
    .language_version:
      - 2
      - 0
    .max_flat_workgroup_size: 256
    .name:           batched_transpose_64x4_half
    .private_segment_fixed_size: 0
    .sgpr_count:     28
    .sgpr_spill_count: 0
    .symbol:         batched_transpose_64x4_half.kd
    .uniform_work_group_size: 1
    .uses_dynamic_stack: false
    .vgpr_count:     13
    .vgpr_spill_count: 0
    .wavefront_size: 64
  - .args:
      - .address_space:  global
        .offset:         0
        .size:           8
        .value_kind:     global_buffer
      - .address_space:  global
        .offset:         8
        .size:           8
        .value_kind:     global_buffer
      - .offset:         16
        .size:           4
        .value_kind:     by_value
      - .offset:         20
        .size:           4
        .value_kind:     by_value
      - .offset:         24
        .size:           4
        .value_kind:     by_value
      - .offset:         28
        .size:           4
        .value_kind:     by_value
      - .offset:         32
        .size:           4
        .value_kind:     by_value
      - .offset:         36
        .size:           4
        .value_kind:     by_value
      - .offset:         40
        .size:           4
        .value_kind:     by_value
      - .offset:         44
        .size:           4
        .value_kind:     by_value
    .group_segment_fixed_size: 0
    .kernarg_segment_align: 8
    .kernarg_segment_size: 48
    .language:       OpenCL C
    .language_version:
      - 2
      - 0
    .max_flat_workgroup_size: 256
    .name:           batched_transpose_64x4_byte
    .private_segment_fixed_size: 0
    .sgpr_count:     28
    .sgpr_spill_count: 0
    .symbol:         batched_transpose_64x4_byte.kd
    .uniform_work_group_size: 1
    .uses_dynamic_stack: false
    .vgpr_count:     10
    .vgpr_spill_count: 0
    .wavefront_size: 64
  - .args:
      - .address_space:  global
        .offset:         0
        .size:           8
        .value_kind:     global_buffer
      - .address_space:  global
        .offset:         8
        .size:           8
        .value_kind:     global_buffer
      - .offset:         16
        .size:           4
        .value_kind:     by_value
      - .offset:         20
        .size:           4
        .value_kind:     by_value
      - .offset:         24
        .size:           4
        .value_kind:     by_value
      - .offset:         28
        .size:           4
        .value_kind:     by_value
      - .offset:         32
        .size:           4
        .value_kind:     by_value
      - .offset:         36
        .size:           4
        .value_kind:     by_value
      - .offset:         40
        .size:           4
        .value_kind:     by_value
      - .offset:         44
        .size:           4
        .value_kind:     by_value
    .group_segment_fixed_size: 2176
    .kernarg_segment_align: 8
    .kernarg_segment_size: 48
    .language:       OpenCL C
    .language_version:
      - 2
      - 0
    .max_flat_workgroup_size: 256
    .name:           batched_transpose_32x32_pack_2x2_ediv_2x2_half
    .private_segment_fixed_size: 0
    .sgpr_count:     40
    .sgpr_spill_count: 0
    .symbol:         batched_transpose_32x32_pack_2x2_ediv_2x2_half.kd
    .uniform_work_group_size: 1
    .uses_dynamic_stack: false
    .vgpr_count:     16
    .vgpr_spill_count: 0
    .wavefront_size: 64
  - .args:
      - .address_space:  global
        .offset:         0
        .size:           8
        .value_kind:     global_buffer
      - .address_space:  global
        .offset:         8
        .size:           8
        .value_kind:     global_buffer
      - .offset:         16
        .size:           4
        .value_kind:     by_value
      - .offset:         20
        .size:           4
        .value_kind:     by_value
      - .offset:         24
        .size:           4
        .value_kind:     by_value
      - .offset:         28
        .size:           4
        .value_kind:     by_value
      - .offset:         32
        .size:           4
        .value_kind:     by_value
      - .offset:         36
        .size:           4
        .value_kind:     by_value
      - .offset:         40
        .size:           4
        .value_kind:     by_value
      - .offset:         44
        .size:           4
        .value_kind:     by_value
    .group_segment_fixed_size: 2176
    .kernarg_segment_align: 8
    .kernarg_segment_size: 48
    .language:       OpenCL C
    .language_version:
      - 2
      - 0
    .max_flat_workgroup_size: 256
    .name:           batched_transpose_32x32_pack_2x2_ediv_1x2_half
    .private_segment_fixed_size: 0
    .sgpr_count:     39
    .sgpr_spill_count: 0
    .symbol:         batched_transpose_32x32_pack_2x2_ediv_1x2_half.kd
    .uniform_work_group_size: 1
    .uses_dynamic_stack: false
    .vgpr_count:     18
    .vgpr_spill_count: 0
    .wavefront_size: 64
  - .args:
      - .address_space:  global
        .offset:         0
        .size:           8
        .value_kind:     global_buffer
      - .address_space:  global
        .offset:         8
        .size:           8
        .value_kind:     global_buffer
      - .offset:         16
        .size:           4
        .value_kind:     by_value
      - .offset:         20
        .size:           4
        .value_kind:     by_value
      - .offset:         24
        .size:           4
        .value_kind:     by_value
      - .offset:         28
        .size:           4
        .value_kind:     by_value
      - .offset:         32
        .size:           4
        .value_kind:     by_value
      - .offset:         36
        .size:           4
        .value_kind:     by_value
      - .offset:         40
        .size:           4
        .value_kind:     by_value
      - .offset:         44
        .size:           4
        .value_kind:     by_value
    .group_segment_fixed_size: 2176
    .kernarg_segment_align: 8
    .kernarg_segment_size: 48
    .language:       OpenCL C
    .language_version:
      - 2
      - 0
    .max_flat_workgroup_size: 256
    .name:           batched_transpose_32x32_pack_2x2_ediv_2x1_half
    .private_segment_fixed_size: 0
    .sgpr_count:     38
    .sgpr_spill_count: 0
    .symbol:         batched_transpose_32x32_pack_2x2_ediv_2x1_half.kd
    .uniform_work_group_size: 1
    .uses_dynamic_stack: false
    .vgpr_count:     20
    .vgpr_spill_count: 0
    .wavefront_size: 64
  - .args:
      - .address_space:  global
        .offset:         0
        .size:           8
        .value_kind:     global_buffer
      - .address_space:  global
        .offset:         8
        .size:           8
        .value_kind:     global_buffer
      - .offset:         16
        .size:           4
        .value_kind:     by_value
      - .offset:         20
        .size:           4
        .value_kind:     by_value
      - .offset:         24
        .size:           4
        .value_kind:     by_value
      - .offset:         28
        .size:           4
        .value_kind:     by_value
      - .offset:         32
        .size:           4
        .value_kind:     by_value
      - .offset:         36
        .size:           4
        .value_kind:     by_value
      - .offset:         40
        .size:           4
        .value_kind:     by_value
      - .offset:         44
        .size:           4
        .value_kind:     by_value
    .group_segment_fixed_size: 2176
    .kernarg_segment_align: 8
    .kernarg_segment_size: 48
    .language:       OpenCL C
    .language_version:
      - 2
      - 0
    .max_flat_workgroup_size: 256
    .name:           batched_transpose_32x32_pack_2x2_ediv_1x1_half
    .private_segment_fixed_size: 0
    .sgpr_count:     42
    .sgpr_spill_count: 0
    .symbol:         batched_transpose_32x32_pack_2x2_ediv_1x1_half.kd
    .uniform_work_group_size: 1
    .uses_dynamic_stack: false
    .vgpr_count:     16
    .vgpr_spill_count: 0
    .wavefront_size: 64
  - .args:
      - .address_space:  global
        .offset:         0
        .size:           8
        .value_kind:     global_buffer
      - .address_space:  global
        .offset:         8
        .size:           8
        .value_kind:     global_buffer
      - .offset:         16
        .size:           4
        .value_kind:     by_value
      - .offset:         20
        .size:           4
        .value_kind:     by_value
      - .offset:         24
        .size:           4
        .value_kind:     by_value
      - .offset:         28
        .size:           4
        .value_kind:     by_value
      - .offset:         32
        .size:           4
        .value_kind:     by_value
      - .offset:         36
        .size:           4
        .value_kind:     by_value
      - .offset:         40
        .size:           4
        .value_kind:     by_value
      - .offset:         44
        .size:           4
        .value_kind:     by_value
    .group_segment_fixed_size: 4352
    .kernarg_segment_align: 8
    .kernarg_segment_size: 48
    .language:       OpenCL C
    .language_version:
      - 2
      - 0
    .max_flat_workgroup_size: 256
    .name:           batched_transpose_64x32_pack_4x2_ediv_4x2_half
    .private_segment_fixed_size: 0
    .sgpr_count:     44
    .sgpr_spill_count: 0
    .symbol:         batched_transpose_64x32_pack_4x2_ediv_4x2_half.kd
    .uniform_work_group_size: 1
    .uses_dynamic_stack: false
    .vgpr_count:     18
    .vgpr_spill_count: 0
    .wavefront_size: 64
  - .args:
      - .address_space:  global
        .offset:         0
        .size:           8
        .value_kind:     global_buffer
      - .address_space:  global
        .offset:         8
        .size:           8
        .value_kind:     global_buffer
      - .offset:         16
        .size:           4
        .value_kind:     by_value
      - .offset:         20
        .size:           4
        .value_kind:     by_value
      - .offset:         24
        .size:           4
        .value_kind:     by_value
      - .offset:         28
        .size:           4
        .value_kind:     by_value
      - .offset:         32
        .size:           4
        .value_kind:     by_value
      - .offset:         36
        .size:           4
        .value_kind:     by_value
      - .offset:         40
        .size:           4
        .value_kind:     by_value
      - .offset:         44
        .size:           4
        .value_kind:     by_value
    .group_segment_fixed_size: 4352
    .kernarg_segment_align: 8
    .kernarg_segment_size: 48
    .language:       OpenCL C
    .language_version:
      - 2
      - 0
    .max_flat_workgroup_size: 256
    .name:           batched_transpose_64x32_pack_4x2_ediv_2x2_half
    .private_segment_fixed_size: 0
    .sgpr_count:     41
    .sgpr_spill_count: 0
    .symbol:         batched_transpose_64x32_pack_4x2_ediv_2x2_half.kd
    .uniform_work_group_size: 1
    .uses_dynamic_stack: false
    .vgpr_count:     24
    .vgpr_spill_count: 0
    .wavefront_size: 64
  - .args:
      - .address_space:  global
        .offset:         0
        .size:           8
        .value_kind:     global_buffer
      - .address_space:  global
        .offset:         8
        .size:           8
        .value_kind:     global_buffer
      - .offset:         16
        .size:           4
        .value_kind:     by_value
      - .offset:         20
        .size:           4
        .value_kind:     by_value
      - .offset:         24
        .size:           4
        .value_kind:     by_value
      - .offset:         28
        .size:           4
        .value_kind:     by_value
      - .offset:         32
        .size:           4
        .value_kind:     by_value
      - .offset:         36
        .size:           4
        .value_kind:     by_value
      - .offset:         40
        .size:           4
        .value_kind:     by_value
      - .offset:         44
        .size:           4
        .value_kind:     by_value
    .group_segment_fixed_size: 4352
    .kernarg_segment_align: 8
    .kernarg_segment_size: 48
    .language:       OpenCL C
    .language_version:
      - 2
      - 0
    .max_flat_workgroup_size: 256
    .name:           batched_transpose_64x32_pack_4x2_ediv_2x1_half
    .private_segment_fixed_size: 0
    .sgpr_count:     46
    .sgpr_spill_count: 0
    .symbol:         batched_transpose_64x32_pack_4x2_ediv_2x1_half.kd
    .uniform_work_group_size: 1
    .uses_dynamic_stack: false
    .vgpr_count:     26
    .vgpr_spill_count: 0
    .wavefront_size: 64
  - .args:
      - .address_space:  global
        .offset:         0
        .size:           8
        .value_kind:     global_buffer
      - .address_space:  global
        .offset:         8
        .size:           8
        .value_kind:     global_buffer
      - .offset:         16
        .size:           4
        .value_kind:     by_value
      - .offset:         20
        .size:           4
        .value_kind:     by_value
      - .offset:         24
        .size:           4
        .value_kind:     by_value
      - .offset:         28
        .size:           4
        .value_kind:     by_value
      - .offset:         32
        .size:           4
        .value_kind:     by_value
      - .offset:         36
        .size:           4
        .value_kind:     by_value
      - .offset:         40
        .size:           4
        .value_kind:     by_value
      - .offset:         44
        .size:           4
        .value_kind:     by_value
    .group_segment_fixed_size: 4352
    .kernarg_segment_align: 8
    .kernarg_segment_size: 48
    .language:       OpenCL C
    .language_version:
      - 2
      - 0
    .max_flat_workgroup_size: 256
    .name:           batched_transpose_32x64_pack_2x4_ediv_2x4_half
    .private_segment_fixed_size: 0
    .sgpr_count:     42
    .sgpr_spill_count: 0
    .symbol:         batched_transpose_32x64_pack_2x4_ediv_2x4_half.kd
    .uniform_work_group_size: 1
    .uses_dynamic_stack: false
    .vgpr_count:     18
    .vgpr_spill_count: 0
    .wavefront_size: 64
  - .args:
      - .address_space:  global
        .offset:         0
        .size:           8
        .value_kind:     global_buffer
      - .address_space:  global
        .offset:         8
        .size:           8
        .value_kind:     global_buffer
      - .offset:         16
        .size:           4
        .value_kind:     by_value
      - .offset:         20
        .size:           4
        .value_kind:     by_value
      - .offset:         24
        .size:           4
        .value_kind:     by_value
      - .offset:         28
        .size:           4
        .value_kind:     by_value
      - .offset:         32
        .size:           4
        .value_kind:     by_value
      - .offset:         36
        .size:           4
        .value_kind:     by_value
      - .offset:         40
        .size:           4
        .value_kind:     by_value
      - .offset:         44
        .size:           4
        .value_kind:     by_value
    .group_segment_fixed_size: 4352
    .kernarg_segment_align: 8
    .kernarg_segment_size: 48
    .language:       OpenCL C
    .language_version:
      - 2
      - 0
    .max_flat_workgroup_size: 256
    .name:           batched_transpose_32x64_pack_2x4_ediv_2x2_half
    .private_segment_fixed_size: 0
    .sgpr_count:     41
    .sgpr_spill_count: 0
    .symbol:         batched_transpose_32x64_pack_2x4_ediv_2x2_half.kd
    .uniform_work_group_size: 1
    .uses_dynamic_stack: false
    .vgpr_count:     25
    .vgpr_spill_count: 0
    .wavefront_size: 64
  - .args:
      - .address_space:  global
        .offset:         0
        .size:           8
        .value_kind:     global_buffer
      - .address_space:  global
        .offset:         8
        .size:           8
        .value_kind:     global_buffer
      - .offset:         16
        .size:           4
        .value_kind:     by_value
      - .offset:         20
        .size:           4
        .value_kind:     by_value
      - .offset:         24
        .size:           4
        .value_kind:     by_value
      - .offset:         28
        .size:           4
        .value_kind:     by_value
      - .offset:         32
        .size:           4
        .value_kind:     by_value
      - .offset:         36
        .size:           4
        .value_kind:     by_value
      - .offset:         40
        .size:           4
        .value_kind:     by_value
      - .offset:         44
        .size:           4
        .value_kind:     by_value
    .group_segment_fixed_size: 4352
    .kernarg_segment_align: 8
    .kernarg_segment_size: 48
    .language:       OpenCL C
    .language_version:
      - 2
      - 0
    .max_flat_workgroup_size: 256
    .name:           batched_transpose_32x64_pack_2x4_ediv_1x2_half
    .private_segment_fixed_size: 0
    .sgpr_count:     48
    .sgpr_spill_count: 0
    .symbol:         batched_transpose_32x64_pack_2x4_ediv_1x2_half.kd
    .uniform_work_group_size: 1
    .uses_dynamic_stack: false
    .vgpr_count:     21
    .vgpr_spill_count: 0
    .wavefront_size: 64
  - .args:
      - .address_space:  global
        .offset:         0
        .size:           8
        .value_kind:     global_buffer
      - .address_space:  global
        .offset:         8
        .size:           8
        .value_kind:     global_buffer
      - .offset:         16
        .size:           4
        .value_kind:     by_value
      - .offset:         20
        .size:           4
        .value_kind:     by_value
      - .offset:         24
        .size:           4
        .value_kind:     by_value
      - .offset:         28
        .size:           4
        .value_kind:     by_value
      - .offset:         32
        .size:           4
        .value_kind:     by_value
      - .offset:         36
        .size:           4
        .value_kind:     by_value
      - .offset:         40
        .size:           4
        .value_kind:     by_value
      - .offset:         44
        .size:           4
        .value_kind:     by_value
    .group_segment_fixed_size: 2176
    .kernarg_segment_align: 8
    .kernarg_segment_size: 48
    .language:       OpenCL C
    .language_version:
      - 2
      - 0
    .max_flat_workgroup_size: 256
    .name:           batched_transpose_16x64_pack_1x4_ediv_1x2_half
    .private_segment_fixed_size: 0
    .sgpr_count:     36
    .sgpr_spill_count: 0
    .symbol:         batched_transpose_16x64_pack_1x4_ediv_1x2_half.kd
    .uniform_work_group_size: 1
    .uses_dynamic_stack: false
    .vgpr_count:     20
    .vgpr_spill_count: 0
    .wavefront_size: 64
  - .args:
      - .address_space:  global
        .offset:         0
        .size:           8
        .value_kind:     global_buffer
      - .address_space:  global
        .offset:         8
        .size:           8
        .value_kind:     global_buffer
      - .offset:         16
        .size:           4
        .value_kind:     by_value
      - .offset:         20
        .size:           4
        .value_kind:     by_value
      - .offset:         24
        .size:           4
        .value_kind:     by_value
      - .offset:         28
        .size:           4
        .value_kind:     by_value
      - .offset:         32
        .size:           4
        .value_kind:     by_value
      - .offset:         36
        .size:           4
        .value_kind:     by_value
      - .offset:         40
        .size:           4
        .value_kind:     by_value
      - .offset:         44
        .size:           4
        .value_kind:     by_value
    .group_segment_fixed_size: 2176
    .kernarg_segment_align: 8
    .kernarg_segment_size: 48
    .language:       OpenCL C
    .language_version:
      - 2
      - 0
    .max_flat_workgroup_size: 256
    .name:           batched_transpose_64x16_pack_4x1_ediv_2x1_half
    .private_segment_fixed_size: 0
    .sgpr_count:     38
    .sgpr_spill_count: 0
    .symbol:         batched_transpose_64x16_pack_4x1_ediv_2x1_half.kd
    .uniform_work_group_size: 1
    .uses_dynamic_stack: false
    .vgpr_count:     20
    .vgpr_spill_count: 0
    .wavefront_size: 64
  - .args:
      - .address_space:  global
        .offset:         0
        .size:           8
        .value_kind:     global_buffer
      - .address_space:  global
        .offset:         8
        .size:           8
        .value_kind:     global_buffer
      - .offset:         16
        .size:           4
        .value_kind:     by_value
      - .offset:         20
        .size:           4
        .value_kind:     by_value
      - .offset:         24
        .size:           4
        .value_kind:     by_value
      - .offset:         28
        .size:           4
        .value_kind:     by_value
      - .offset:         32
        .size:           4
        .value_kind:     by_value
      - .offset:         36
        .size:           4
        .value_kind:     by_value
      - .offset:         40
        .size:           4
        .value_kind:     by_value
      - .offset:         44
        .size:           4
        .value_kind:     by_value
    .group_segment_fixed_size: 8704
    .kernarg_segment_align: 8
    .kernarg_segment_size: 48
    .language:       OpenCL C
    .language_version:
      - 2
      - 0
    .max_flat_workgroup_size: 256
    .name:           batched_transpose_64x64_pack_4x4_ediv_4x4_half
    .private_segment_fixed_size: 0
    .sgpr_count:     48
    .sgpr_spill_count: 0
    .symbol:         batched_transpose_64x64_pack_4x4_ediv_4x4_half.kd
    .uniform_work_group_size: 1
    .uses_dynamic_stack: false
    .vgpr_count:     29
    .vgpr_spill_count: 0
    .wavefront_size: 64
  - .args:
      - .address_space:  global
        .offset:         0
        .size:           8
        .value_kind:     global_buffer
      - .address_space:  global
        .offset:         8
        .size:           8
        .value_kind:     global_buffer
      - .offset:         16
        .size:           4
        .value_kind:     by_value
      - .offset:         20
        .size:           4
        .value_kind:     by_value
      - .offset:         24
        .size:           4
        .value_kind:     by_value
      - .offset:         28
        .size:           4
        .value_kind:     by_value
      - .offset:         32
        .size:           4
        .value_kind:     by_value
      - .offset:         36
        .size:           4
        .value_kind:     by_value
      - .offset:         40
        .size:           4
        .value_kind:     by_value
      - .offset:         44
        .size:           4
        .value_kind:     by_value
    .group_segment_fixed_size: 8704
    .kernarg_segment_align: 8
    .kernarg_segment_size: 48
    .language:       OpenCL C
    .language_version:
      - 2
      - 0
    .max_flat_workgroup_size: 256
    .name:           batched_transpose_64x64_pack_4x4_ediv_2x2_half
    .private_segment_fixed_size: 0
    .sgpr_count:     50
    .sgpr_spill_count: 0
    .symbol:         batched_transpose_64x64_pack_4x4_ediv_2x2_half.kd
    .uniform_work_group_size: 1
    .uses_dynamic_stack: false
    .vgpr_count:     33
    .vgpr_spill_count: 0
    .wavefront_size: 64
amdhsa.target:   amdgcn-amd-amdhsa--gfx906
amdhsa.version:
  - 1
  - 2
...

	.end_amdgpu_metadata
